;; amdgpu-corpus repo=ROCm/MIOpen kind=compiled arch=gfx1250 opt=O3
	.amdgcn_target "amdgcn-amd-amdhsa--gfx1250"
	.amdhsa_code_object_version 6
	.text
	.protected	AdamContiguous          ; -- Begin function AdamContiguous
	.globl	AdamContiguous
	.p2align	8
	.type	AdamContiguous,@function
AdamContiguous:                         ; @AdamContiguous
; %bb.0:
	s_clause 0x1
	s_load_b32 s2, s[0:1], 0x7c
	s_load_b64 s[28:29], s[0:1], 0x68
	s_bfe_u32 s3, ttmp6, 0x4000c
	s_and_b32 s4, ttmp6, 15
	s_add_co_i32 s3, s3, 1
	s_getreg_b32 s5, hwreg(HW_REG_IB_STS2, 6, 4)
	s_mul_i32 s3, ttmp9, s3
	v_mov_b32_e32 v1, 0
	s_add_co_i32 s4, s4, s3
	s_mov_b32 s27, 0
	s_wait_kmcnt 0x0
	s_and_b32 s33, s2, 0xffff
	s_cmp_eq_u32 s5, 0
	s_cselect_b32 s2, ttmp9, s4
	s_delay_alu instid0(SALU_CYCLE_1) | instskip(SKIP_1) | instid1(VALU_DEP_1)
	v_mad_u32 v0, s2, s33, v0
	s_mov_b32 s2, exec_lo
	v_cmpx_gt_u64_e64 s[28:29], v[0:1]
	s_cbranch_execz .LBB0_11
; %bb.1:
	s_clause 0x3
	s_load_b96 s[24:26], s[0:1], 0x58
	s_load_b32 s10, s[0:1], 0x60
	s_load_b128 s[20:23], s[0:1], 0x48
	s_load_b64 s[30:31], s[0:1], 0x40
	s_mov_b64 s[8:9], 0x3fe5555555555555
	s_mov_b64 s[6:7], 0x3fe62e42fefa39ef
	s_wait_kmcnt 0x0
	v_cvt_f64_u32_e32 v[4:5], s25
	s_cmp_neq_f32 s22, 1.0
	v_cvt_f64_f32_e32 v[2:3], s22
	s_cselect_b32 vcc_lo, -1, 0
	s_delay_alu instid0(VALU_DEP_2) | instskip(NEXT) | instid1(VALU_DEP_3)
	v_cndmask_b32_e32 v11, 0x3ff00000, v5, vcc_lo
	v_cndmask_b32_e32 v10, 0, v4, vcc_lo
	s_delay_alu instid0(VALU_DEP_1) | instskip(NEXT) | instid1(VALU_DEP_4)
	v_cmp_neq_f64_e32 vcc_lo, 0, v[10:11]
	v_cndmask_b32_e32 v7, 0x3ff00000, v3, vcc_lo
	v_cndmask_b32_e32 v6, 0, v2, vcc_lo
	s_delay_alu instid0(VALU_DEP_1) | instskip(SKIP_2) | instid1(VALU_DEP_3)
	v_frexp_mant_f64_e64 v[2:3], |v[6:7]|
	v_frexp_exp_i32_f64_e32 v8, v[6:7]
	v_cmp_class_f64_e64 s5, v[6:7], 0x204
	v_cmp_gt_f64_e32 vcc_lo, s[8:9], v[2:3]
	s_delay_alu instid0(VALU_DEP_3) | instskip(SKIP_1) | instid1(VALU_DEP_1)
	v_subrev_co_ci_u32_e64 v30, null, 0, v8, vcc_lo
	v_cndmask_b32_e64 v8, 0, 1, vcc_lo
	v_ldexp_f64 v[2:3], v[2:3], v8
	s_delay_alu instid0(VALU_DEP_1) | instskip(SKIP_1) | instid1(VALU_DEP_2)
	v_add_f64_e32 v[8:9], 1.0, v[2:3]
	v_add_f64_e32 v[16:17], -1.0, v[2:3]
	v_rcp_f64_e32 v[12:13], v[8:9]
	v_add_f64_e32 v[18:19], -1.0, v[8:9]
	s_delay_alu instid0(VALU_DEP_1) | instskip(NEXT) | instid1(TRANS32_DEP_1)
	v_add_f64_e64 v[2:3], v[2:3], -v[18:19]
	v_fma_f64 v[14:15], -v[8:9], v[12:13], 1.0
	s_delay_alu instid0(VALU_DEP_1) | instskip(NEXT) | instid1(VALU_DEP_1)
	v_fmac_f64_e32 v[12:13], v[14:15], v[12:13]
	v_fma_f64 v[14:15], -v[8:9], v[12:13], 1.0
	s_delay_alu instid0(VALU_DEP_1) | instskip(NEXT) | instid1(VALU_DEP_1)
	v_fmac_f64_e32 v[12:13], v[14:15], v[12:13]
	v_mul_f64_e32 v[14:15], v[16:17], v[12:13]
	s_delay_alu instid0(VALU_DEP_1) | instskip(NEXT) | instid1(VALU_DEP_1)
	v_mul_f64_e32 v[20:21], v[8:9], v[14:15]
	v_fma_f64 v[8:9], v[14:15], v[8:9], -v[20:21]
	s_delay_alu instid0(VALU_DEP_1) | instskip(NEXT) | instid1(VALU_DEP_1)
	v_fmac_f64_e32 v[8:9], v[14:15], v[2:3]
	v_add_f64_e32 v[2:3], v[20:21], v[8:9]
	s_delay_alu instid0(VALU_DEP_1) | instskip(SKIP_1) | instid1(VALU_DEP_2)
	v_add_f64_e64 v[18:19], v[16:17], -v[2:3]
	v_add_f64_e64 v[20:21], v[2:3], -v[20:21]
	;; [unrolled: 1-line block ×3, first 2 shown]
	s_delay_alu instid0(VALU_DEP_2) | instskip(NEXT) | instid1(VALU_DEP_2)
	v_add_f64_e64 v[8:9], v[20:21], -v[8:9]
	v_add_f64_e64 v[2:3], v[16:17], -v[2:3]
	s_delay_alu instid0(VALU_DEP_1) | instskip(NEXT) | instid1(VALU_DEP_1)
	v_add_f64_e32 v[2:3], v[8:9], v[2:3]
	v_add_f64_e32 v[2:3], v[18:19], v[2:3]
	s_delay_alu instid0(VALU_DEP_1) | instskip(NEXT) | instid1(VALU_DEP_1)
	v_mul_f64_e32 v[2:3], v[12:13], v[2:3]
	v_add_f64_e32 v[12:13], v[14:15], v[2:3]
	s_delay_alu instid0(VALU_DEP_1) | instskip(SKIP_1) | instid1(VALU_DEP_2)
	v_add_f64_e64 v[8:9], v[12:13], -v[14:15]
	v_mul_f64_e32 v[14:15], v[12:13], v[12:13]
	v_add_f64_e64 v[2:3], v[2:3], -v[8:9]
	s_delay_alu instid0(VALU_DEP_2) | instskip(NEXT) | instid1(VALU_DEP_2)
	v_fma_f64 v[16:17], v[12:13], v[12:13], -v[14:15]
	v_add_f64_e32 v[8:9], v[2:3], v[2:3]
	s_delay_alu instid0(VALU_DEP_1) | instskip(SKIP_1) | instid1(VALU_DEP_2)
	v_fmac_f64_e32 v[16:17], v[12:13], v[8:9]
	v_mov_b64_e32 v[8:9], 0x3fba6564968915a9
	v_add_f64_e32 v[18:19], v[14:15], v[16:17]
	s_delay_alu instid0(VALU_DEP_1) | instskip(SKIP_2) | instid1(VALU_DEP_3)
	v_fmamk_f64 v[20:21], v[18:19], 0x3fbdee674222de17, v[8:9]
	v_add_f64_e64 v[14:15], v[18:19], -v[14:15]
	v_mul_f64_e32 v[26:27], v[12:13], v[18:19]
	v_fmaak_f64 v[20:21], v[18:19], v[20:21], 0x3fbe25e43abe935a
	s_delay_alu instid0(VALU_DEP_1) | instskip(NEXT) | instid1(VALU_DEP_1)
	v_fmaak_f64 v[20:21], v[18:19], v[20:21], 0x3fc110ef47e6c9c2
	v_fmaak_f64 v[20:21], v[18:19], v[20:21], 0x3fc3b13bcfa74449
	s_delay_alu instid0(VALU_DEP_1) | instskip(SKIP_2) | instid1(VALU_DEP_3)
	v_fmaak_f64 v[20:21], v[18:19], v[20:21], 0x3fc745d171bf3c30
	v_add_f64_e64 v[14:15], v[16:17], -v[14:15]
	v_fma_f64 v[28:29], v[18:19], v[12:13], -v[26:27]
	v_fmaak_f64 v[20:21], v[18:19], v[20:21], 0x3fcc71c71c7792ce
	s_delay_alu instid0(VALU_DEP_1) | instskip(NEXT) | instid1(VALU_DEP_1)
	v_fmaak_f64 v[20:21], v[18:19], v[20:21], 0x3fd24924924920da
	v_fmaak_f64 v[20:21], v[18:19], v[20:21], 0x3fd999999999999c
	s_delay_alu instid0(VALU_DEP_1) | instskip(SKIP_2) | instid1(VALU_DEP_3)
	v_mul_f64_e32 v[22:23], v[18:19], v[20:21]
	v_fmac_f64_e32 v[28:29], v[18:19], v[2:3]
	v_ldexp_f64 v[2:3], v[2:3], 1
	v_fma_f64 v[16:17], v[18:19], v[20:21], -v[22:23]
	s_delay_alu instid0(VALU_DEP_3) | instskip(SKIP_1) | instid1(VALU_DEP_3)
	v_fmac_f64_e32 v[28:29], v[14:15], v[12:13]
	v_ldexp_f64 v[12:13], v[12:13], 1
	v_fmac_f64_e32 v[16:17], v[14:15], v[20:21]
	s_delay_alu instid0(VALU_DEP_3) | instskip(NEXT) | instid1(VALU_DEP_2)
	v_add_f64_e32 v[18:19], v[26:27], v[28:29]
	v_add_f64_e32 v[20:21], v[22:23], v[16:17]
	s_delay_alu instid0(VALU_DEP_1) | instskip(SKIP_1) | instid1(VALU_DEP_2)
	v_add_f64_e64 v[22:23], v[20:21], -v[22:23]
	v_add_f64_e32 v[24:25], 0x3fe5555555555555, v[20:21]
	v_add_f64_e64 v[16:17], v[16:17], -v[22:23]
	s_delay_alu instid0(VALU_DEP_2) | instskip(NEXT) | instid1(VALU_DEP_2)
	v_add_f64_e32 v[22:23], 0xbfe5555555555555, v[24:25]
	v_add_f64_e32 v[16:17], 0x3c8543b0d5df274d, v[16:17]
	s_delay_alu instid0(VALU_DEP_2) | instskip(NEXT) | instid1(VALU_DEP_1)
	v_add_f64_e64 v[20:21], v[20:21], -v[22:23]
	v_add_f64_e32 v[16:17], v[16:17], v[20:21]
	s_delay_alu instid0(VALU_DEP_1) | instskip(NEXT) | instid1(VALU_DEP_1)
	v_add_f64_e32 v[14:15], v[24:25], v[16:17]
	v_add_f64_e64 v[20:21], v[24:25], -v[14:15]
	v_mul_f64_e32 v[22:23], v[18:19], v[14:15]
	v_add_f64_e64 v[24:25], v[18:19], -v[26:27]
	s_delay_alu instid0(VALU_DEP_3) | instskip(NEXT) | instid1(VALU_DEP_3)
	v_add_f64_e32 v[16:17], v[16:17], v[20:21]
	v_fma_f64 v[20:21], v[18:19], v[14:15], -v[22:23]
	s_delay_alu instid0(VALU_DEP_3) | instskip(NEXT) | instid1(VALU_DEP_2)
	v_add_f64_e64 v[24:25], v[28:29], -v[24:25]
	v_fmac_f64_e32 v[20:21], v[18:19], v[16:17]
	v_cvt_f64_i32_e32 v[16:17], v30
	s_delay_alu instid0(VALU_DEP_2) | instskip(NEXT) | instid1(VALU_DEP_2)
	v_fmac_f64_e32 v[20:21], v[24:25], v[14:15]
	v_mul_f64_e32 v[24:25], 0x3fe62e42fefa39ef, v[16:17]
	s_delay_alu instid0(VALU_DEP_2) | instskip(NEXT) | instid1(VALU_DEP_1)
	v_add_f64_e32 v[14:15], v[22:23], v[20:21]
	v_add_f64_e64 v[18:19], v[14:15], -v[22:23]
	v_add_f64_e32 v[22:23], v[12:13], v[14:15]
	s_delay_alu instid0(VALU_DEP_2) | instskip(NEXT) | instid1(VALU_DEP_2)
	v_add_f64_e64 v[18:19], v[20:21], -v[18:19]
	v_add_f64_e64 v[12:13], v[22:23], -v[12:13]
	v_fma_f64 v[20:21], v[16:17], s[6:7], -v[24:25]
	s_delay_alu instid0(VALU_DEP_3) | instskip(NEXT) | instid1(VALU_DEP_3)
	v_add_f64_e32 v[2:3], v[2:3], v[18:19]
	v_add_f64_e64 v[12:13], v[14:15], -v[12:13]
	s_delay_alu instid0(VALU_DEP_3) | instskip(NEXT) | instid1(VALU_DEP_2)
	v_fmac_f64_e32 v[20:21], 0x3c7abc9e3b39803f, v[16:17]
	v_add_f64_e32 v[2:3], v[2:3], v[12:13]
	s_delay_alu instid0(VALU_DEP_2) | instskip(NEXT) | instid1(VALU_DEP_2)
	v_add_f64_e32 v[12:13], v[24:25], v[20:21]
	v_add_f64_e32 v[14:15], v[22:23], v[2:3]
	s_delay_alu instid0(VALU_DEP_2) | instskip(NEXT) | instid1(VALU_DEP_2)
	v_add_f64_e64 v[24:25], v[12:13], -v[24:25]
	v_add_f64_e32 v[16:17], v[12:13], v[14:15]
	v_add_f64_e64 v[22:23], v[14:15], -v[22:23]
	s_delay_alu instid0(VALU_DEP_3) | instskip(NEXT) | instid1(VALU_DEP_3)
	v_add_f64_e64 v[20:21], v[20:21], -v[24:25]
	v_add_f64_e64 v[18:19], v[16:17], -v[12:13]
	s_delay_alu instid0(VALU_DEP_3) | instskip(NEXT) | instid1(VALU_DEP_2)
	v_add_f64_e64 v[2:3], v[2:3], -v[22:23]
	v_add_f64_e64 v[26:27], v[16:17], -v[18:19]
	;; [unrolled: 1-line block ×3, first 2 shown]
	s_delay_alu instid0(VALU_DEP_3) | instskip(NEXT) | instid1(VALU_DEP_3)
	v_add_f64_e32 v[18:19], v[20:21], v[2:3]
	v_add_f64_e64 v[12:13], v[12:13], -v[26:27]
	s_delay_alu instid0(VALU_DEP_1) | instskip(NEXT) | instid1(VALU_DEP_3)
	v_add_f64_e32 v[12:13], v[14:15], v[12:13]
	v_add_f64_e64 v[14:15], v[18:19], -v[20:21]
	s_delay_alu instid0(VALU_DEP_2) | instskip(NEXT) | instid1(VALU_DEP_2)
	v_add_f64_e32 v[12:13], v[18:19], v[12:13]
	v_add_f64_e64 v[18:19], v[18:19], -v[14:15]
	v_add_f64_e64 v[2:3], v[2:3], -v[14:15]
	s_delay_alu instid0(VALU_DEP_3) | instskip(NEXT) | instid1(VALU_DEP_3)
	v_add_f64_e32 v[22:23], v[16:17], v[12:13]
	v_add_f64_e64 v[14:15], v[20:21], -v[18:19]
	s_delay_alu instid0(VALU_DEP_2) | instskip(NEXT) | instid1(VALU_DEP_2)
	v_add_f64_e64 v[16:17], v[22:23], -v[16:17]
	v_add_f64_e32 v[2:3], v[2:3], v[14:15]
	s_delay_alu instid0(VALU_DEP_2) | instskip(NEXT) | instid1(VALU_DEP_1)
	v_add_f64_e64 v[12:13], v[12:13], -v[16:17]
	v_add_f64_e32 v[2:3], v[2:3], v[12:13]
	s_delay_alu instid0(VALU_DEP_1) | instskip(NEXT) | instid1(VALU_DEP_1)
	v_add_f64_e32 v[12:13], v[22:23], v[2:3]
	v_add_f64_e64 v[14:15], v[12:13], -v[22:23]
	v_mul_f64_e32 v[16:17], v[10:11], v[12:13]
	s_delay_alu instid0(VALU_DEP_2) | instskip(NEXT) | instid1(VALU_DEP_2)
	v_add_f64_e64 v[2:3], v[2:3], -v[14:15]
	v_fma_f64 v[12:13], v[10:11], v[12:13], -v[16:17]
	v_cmp_class_f64_e64 vcc_lo, v[16:17], 0x204
	s_delay_alu instid0(VALU_DEP_2) | instskip(NEXT) | instid1(VALU_DEP_1)
	v_fmac_f64_e32 v[12:13], v[10:11], v[2:3]
	v_add_f64_e32 v[14:15], v[16:17], v[12:13]
	s_delay_alu instid0(VALU_DEP_1) | instskip(SKIP_3) | instid1(VALU_DEP_4)
	v_dual_cndmask_b32 v19, v15, v17 :: v_dual_cndmask_b32 v18, v14, v16
	v_add_f64_e64 v[14:15], v[14:15], -v[16:17]
	v_mul_f64_e32 v[16:17], 0.5, v[10:11]
	v_cmp_eq_f64_e32 vcc_lo, 0, v[6:7]
	v_mul_f64_e32 v[2:3], 0x3ff71547652b82fe, v[18:19]
	v_cmp_nlt_f64_e64 s2, 0x40900000, v[18:19]
	v_cmp_ngt_f64_e64 s3, 0xc090cc00, v[18:19]
	v_cmp_neq_f64_e64 s4, 0x7ff00000, |v[18:19]|
	v_add_f64_e64 v[12:13], v[12:13], -v[14:15]
	v_trunc_f64_e32 v[14:15], v[10:11]
	s_or_b32 s5, vcc_lo, s5
	s_and_b32 s11, vcc_lo, exec_lo
	v_rndne_f64_e32 v[20:21], v[2:3]
	v_mov_b64_e32 v[2:3], 0x3e928af3fca7ab0c
	s_cselect_b32 s11, 0, 0x7ff00000
	s_and_b32 vcc_lo, s3, s2
	s_delay_alu instid0(VALU_DEP_4) | instskip(NEXT) | instid1(VALU_DEP_3)
	v_dual_cndmask_b32 v13, 0, v13, s4 :: v_dual_cndmask_b32 v12, 0, v12, s4
	v_fmamk_f64 v[22:23], v[20:21], 0xbfe62e42fefa39ef, v[18:19]
	v_cvt_i32_f64_e32 v26, v[20:21]
	v_trunc_f64_e32 v[18:19], v[16:17]
	s_delay_alu instid0(VALU_DEP_3) | instskip(NEXT) | instid1(VALU_DEP_1)
	v_fmac_f64_e32 v[22:23], 0xbc7abc9e3b39803f, v[20:21]
	v_fmamk_f64 v[24:25], v[22:23], 0x3e5ade156a5dcb37, v[2:3]
	s_delay_alu instid0(VALU_DEP_1) | instskip(NEXT) | instid1(VALU_DEP_1)
	v_fmaak_f64 v[24:25], v[22:23], v[24:25], 0x3ec71dee623fde64
	v_fmaak_f64 v[24:25], v[22:23], v[24:25], 0x3efa01997c89e6b0
	s_delay_alu instid0(VALU_DEP_1) | instskip(NEXT) | instid1(VALU_DEP_1)
	v_fmaak_f64 v[24:25], v[22:23], v[24:25], 0x3f2a01a014761f6e
	v_fmaak_f64 v[24:25], v[22:23], v[24:25], 0x3f56c16c1852b7b0
	;; [unrolled: 3-line block ×4, first 2 shown]
	s_delay_alu instid0(VALU_DEP_1) | instskip(NEXT) | instid1(VALU_DEP_1)
	v_fma_f64 v[24:25], v[22:23], v[24:25], 1.0
	v_fma_f64 v[20:21], v[22:23], v[24:25], 1.0
	s_delay_alu instid0(VALU_DEP_1) | instskip(NEXT) | instid1(VALU_DEP_1)
	v_ldexp_f64 v[20:21], v[20:21], v26
	v_cndmask_b32_e64 v6, 0x7ff00000, v21, s2
	s_delay_alu instid0(VALU_DEP_2) | instskip(SKIP_2) | instid1(VALU_DEP_4)
	v_cndmask_b32_e32 v20, 0, v20, vcc_lo
	v_cmp_eq_f64_e32 vcc_lo, v[14:15], v[10:11]
	v_cmp_neq_f64_e64 s2, v[18:19], v[16:17]
	v_cndmask_b32_e64 v21, 0, v6, s3
	s_delay_alu instid0(VALU_DEP_1) | instskip(SKIP_1) | instid1(VALU_DEP_2)
	v_mov_b64_e32 v[22:23], v[20:21]
	v_cmp_class_f64_e64 s3, v[20:21], 0x204
	v_fmac_f64_e32 v[22:23], v[22:23], v[12:13]
	s_and_b32 vcc_lo, vcc_lo, s2
	v_cndmask_b32_e32 v6, 0, v7, vcc_lo
	v_cndmask_b32_e32 v7, 0x3ff00000, v7, vcc_lo
	s_delay_alu instid0(VALU_DEP_2) | instskip(NEXT) | instid1(VALU_DEP_4)
	v_bfi_b32 v12, 0x7fffffff, s11, v6
	v_dual_cndmask_b32 v11, v23, v21, s3 :: v_dual_cndmask_b32 v10, v22, v20, s3
	s_delay_alu instid0(VALU_DEP_1) | instskip(NEXT) | instid1(VALU_DEP_2)
	v_bfi_b32 v7, 0x7fffffff, v11, v7
	v_cndmask_b32_e64 v6, v10, 0, s5
	s_delay_alu instid0(VALU_DEP_2) | instskip(NEXT) | instid1(VALU_DEP_1)
	v_cndmask_b32_e64 v7, v7, v12, s5
	v_add_f64_e64 v[6:7], -v[6:7], 1.0
	s_delay_alu instid0(VALU_DEP_1) | instskip(NEXT) | instid1(VALU_DEP_1)
	v_cvt_f32_f64_e32 v10, v[6:7]
	v_readfirstlane_b32 s2, v10
	s_mul_f32 s3, s2, 0x4f800000
	s_cmp_lt_f32 s2, 0xf800000
	s_delay_alu instid0(SALU_CYCLE_2) | instskip(NEXT) | instid1(SALU_CYCLE_1)
	s_cselect_b32 s34, s3, s2
	v_s_sqrt_f32 s2, s34
	s_mov_b32 s4, s34
	s_delay_alu instid0(TRANS32_DEP_1) | instskip(NEXT) | instid1(SALU_CYCLE_1)
	s_add_co_i32 s3, s2, -1
	s_xor_b32 s5, s3, 0x80000000
	s_delay_alu instid0(SALU_CYCLE_1) | instskip(SKIP_1) | instid1(SALU_CYCLE_2)
	s_fmac_f32 s4, s5, s2
	s_mov_b32 s5, s34
	s_cmp_le_f32 s4, 0
	s_cselect_b32 s3, s3, s2
	s_add_co_i32 s4, s2, 1
	s_delay_alu instid0(SALU_CYCLE_1) | instskip(NEXT) | instid1(SALU_CYCLE_1)
	s_xor_b32 s11, s4, 0x80000000
	s_fmac_f32 s5, s11, s2
	s_delay_alu instid0(SALU_CYCLE_3)
	s_cmp_gt_f32 s5, 0
	s_cselect_b32 s35, s4, s3
	s_bitcmp1_b32 s26, 0
	s_cselect_b32 s25, -1, 0
	s_bitcmp1_b32 s10, 8
	s_cselect_b32 s36, -1, 0
	;; [unrolled: 2-line block ×3, first 2 shown]
	s_delay_alu instid0(SALU_CYCLE_1)
	s_xor_b32 s37, s2, -1
	s_cmp_neq_f32 s23, 0
	s_cselect_b32 s38, -1, 0
	s_cmp_neq_f32 s21, 1.0
	s_cselect_b32 vcc_lo, -1, 0
	v_cndmask_b32_e32 v7, 0x3ff00000, v5, vcc_lo
	v_cndmask_b32_e32 v6, 0, v4, vcc_lo
	v_cvt_f64_f32_e32 v[4:5], s21
	s_delay_alu instid0(VALU_DEP_2) | instskip(NEXT) | instid1(VALU_DEP_2)
	v_cmp_neq_f64_e32 vcc_lo, 0, v[6:7]
	v_cndmask_b32_e32 v5, 0x3ff00000, v5, vcc_lo
	s_delay_alu instid0(VALU_DEP_3) | instskip(NEXT) | instid1(VALU_DEP_1)
	v_cndmask_b32_e32 v4, 0, v4, vcc_lo
	v_frexp_mant_f64_e64 v[12:13], |v[4:5]|
	v_frexp_exp_i32_f64_e32 v11, v[4:5]
	v_cmp_class_f64_e64 s5, v[4:5], 0x204
	s_delay_alu instid0(VALU_DEP_3) | instskip(SKIP_1) | instid1(VALU_DEP_4)
	v_cmp_gt_f64_e32 vcc_lo, s[8:9], v[12:13]
	v_cndmask_b32_e64 v14, 0, 1, vcc_lo
	v_subrev_co_ci_u32_e64 v11, null, 0, v11, vcc_lo
	s_delay_alu instid0(VALU_DEP_2) | instskip(NEXT) | instid1(VALU_DEP_1)
	v_ldexp_f64 v[12:13], v[12:13], v14
	v_add_f64_e32 v[14:15], 1.0, v[12:13]
	v_add_f64_e32 v[20:21], -1.0, v[12:13]
	s_delay_alu instid0(VALU_DEP_2) | instskip(SKIP_1) | instid1(VALU_DEP_1)
	v_rcp_f64_e32 v[16:17], v[14:15]
	v_add_f64_e32 v[22:23], -1.0, v[14:15]
	v_add_f64_e64 v[12:13], v[12:13], -v[22:23]
	s_delay_alu instid0(TRANS32_DEP_1) | instskip(NEXT) | instid1(VALU_DEP_1)
	v_fma_f64 v[18:19], -v[14:15], v[16:17], 1.0
	v_fmac_f64_e32 v[16:17], v[18:19], v[16:17]
	s_delay_alu instid0(VALU_DEP_1) | instskip(NEXT) | instid1(VALU_DEP_1)
	v_fma_f64 v[18:19], -v[14:15], v[16:17], 1.0
	v_fmac_f64_e32 v[16:17], v[18:19], v[16:17]
	s_delay_alu instid0(VALU_DEP_1) | instskip(NEXT) | instid1(VALU_DEP_1)
	v_mul_f64_e32 v[18:19], v[20:21], v[16:17]
	v_mul_f64_e32 v[24:25], v[14:15], v[18:19]
	s_delay_alu instid0(VALU_DEP_1) | instskip(NEXT) | instid1(VALU_DEP_1)
	v_fma_f64 v[14:15], v[18:19], v[14:15], -v[24:25]
	v_fmac_f64_e32 v[14:15], v[18:19], v[12:13]
	s_delay_alu instid0(VALU_DEP_1) | instskip(NEXT) | instid1(VALU_DEP_1)
	v_add_f64_e32 v[12:13], v[24:25], v[14:15]
	v_add_f64_e64 v[22:23], v[20:21], -v[12:13]
	v_add_f64_e64 v[24:25], v[12:13], -v[24:25]
	s_delay_alu instid0(VALU_DEP_2) | instskip(NEXT) | instid1(VALU_DEP_2)
	v_add_f64_e64 v[20:21], v[20:21], -v[22:23]
	v_add_f64_e64 v[14:15], v[24:25], -v[14:15]
	s_delay_alu instid0(VALU_DEP_2) | instskip(NEXT) | instid1(VALU_DEP_1)
	v_add_f64_e64 v[12:13], v[20:21], -v[12:13]
	v_add_f64_e32 v[12:13], v[14:15], v[12:13]
	s_delay_alu instid0(VALU_DEP_1) | instskip(SKIP_1) | instid1(VALU_DEP_2)
	v_add_f64_e32 v[12:13], v[22:23], v[12:13]
	v_mov_b64_e32 v[22:23], 0x3fbe25e43abe935a
	v_mul_f64_e32 v[12:13], v[16:17], v[12:13]
	s_delay_alu instid0(VALU_DEP_1) | instskip(NEXT) | instid1(VALU_DEP_1)
	v_add_f64_e32 v[14:15], v[18:19], v[12:13]
	v_add_f64_e64 v[16:17], v[14:15], -v[18:19]
	v_mul_f64_e32 v[18:19], v[14:15], v[14:15]
	s_delay_alu instid0(VALU_DEP_2) | instskip(NEXT) | instid1(VALU_DEP_2)
	v_add_f64_e64 v[12:13], v[12:13], -v[16:17]
	v_fma_f64 v[16:17], v[14:15], v[14:15], -v[18:19]
	s_delay_alu instid0(VALU_DEP_2) | instskip(NEXT) | instid1(VALU_DEP_1)
	v_add_f64_e32 v[20:21], v[12:13], v[12:13]
	v_fmac_f64_e32 v[16:17], v[14:15], v[20:21]
	s_delay_alu instid0(VALU_DEP_1) | instskip(NEXT) | instid1(VALU_DEP_1)
	v_add_f64_e32 v[20:21], v[18:19], v[16:17]
	v_fmac_f64_e32 v[8:9], 0x3fbdee674222de17, v[20:21]
	v_mul_f64_e32 v[26:27], v[14:15], v[20:21]
	s_delay_alu instid0(VALU_DEP_2) | instskip(SKIP_1) | instid1(VALU_DEP_3)
	v_fmac_f64_e32 v[22:23], v[20:21], v[8:9]
	v_mov_b64_e32 v[8:9], 0x3fc110ef47e6c9c2
	v_fma_f64 v[28:29], v[20:21], v[14:15], -v[26:27]
	s_delay_alu instid0(VALU_DEP_2) | instskip(SKIP_1) | instid1(VALU_DEP_3)
	v_fmac_f64_e32 v[8:9], v[20:21], v[22:23]
	v_mov_b64_e32 v[22:23], 0x3fc3b13bcfa74449
	v_fmac_f64_e32 v[28:29], v[20:21], v[12:13]
	v_ldexp_f64 v[12:13], v[12:13], 1
	s_delay_alu instid0(VALU_DEP_3) | instskip(SKIP_1) | instid1(VALU_DEP_1)
	v_fmac_f64_e32 v[22:23], v[20:21], v[8:9]
	v_mov_b64_e32 v[8:9], 0x3fc745d171bf3c30
	v_fmac_f64_e32 v[8:9], v[20:21], v[22:23]
	v_mov_b64_e32 v[22:23], 0x3fcc71c71c7792ce
	s_delay_alu instid0(VALU_DEP_1) | instskip(SKIP_1) | instid1(VALU_DEP_1)
	v_fmac_f64_e32 v[22:23], v[20:21], v[8:9]
	v_mov_b64_e32 v[8:9], 0x3fd24924924920da
	v_fmac_f64_e32 v[8:9], v[20:21], v[22:23]
	v_mov_b64_e32 v[22:23], 0x3fd999999999999c
	s_delay_alu instid0(VALU_DEP_1) | instskip(SKIP_1) | instid1(VALU_DEP_2)
	v_fmac_f64_e32 v[22:23], v[20:21], v[8:9]
	v_add_f64_e64 v[8:9], v[20:21], -v[18:19]
	v_mul_f64_e32 v[18:19], v[20:21], v[22:23]
	s_delay_alu instid0(VALU_DEP_2) | instskip(NEXT) | instid1(VALU_DEP_2)
	v_add_f64_e64 v[8:9], v[16:17], -v[8:9]
	v_fma_f64 v[16:17], v[20:21], v[22:23], -v[18:19]
	s_delay_alu instid0(VALU_DEP_2) | instskip(SKIP_1) | instid1(VALU_DEP_3)
	v_fmac_f64_e32 v[28:29], v[8:9], v[14:15]
	v_ldexp_f64 v[14:15], v[14:15], 1
	v_fmac_f64_e32 v[16:17], v[8:9], v[22:23]
	s_delay_alu instid0(VALU_DEP_1) | instskip(NEXT) | instid1(VALU_DEP_1)
	v_add_f64_e32 v[22:23], v[18:19], v[16:17]
	v_add_f64_e64 v[18:19], v[22:23], -v[18:19]
	v_add_f64_e32 v[24:25], 0x3fe5555555555555, v[22:23]
	s_delay_alu instid0(VALU_DEP_2) | instskip(NEXT) | instid1(VALU_DEP_2)
	v_add_f64_e64 v[16:17], v[16:17], -v[18:19]
	v_add_f64_e32 v[18:19], 0xbfe5555555555555, v[24:25]
	s_delay_alu instid0(VALU_DEP_2) | instskip(NEXT) | instid1(VALU_DEP_2)
	v_add_f64_e32 v[16:17], 0x3c8543b0d5df274d, v[16:17]
	v_add_f64_e64 v[18:19], v[22:23], -v[18:19]
	s_delay_alu instid0(VALU_DEP_1) | instskip(SKIP_1) | instid1(VALU_DEP_2)
	v_add_f64_e32 v[16:17], v[16:17], v[18:19]
	v_add_f64_e32 v[18:19], v[26:27], v[28:29]
	;; [unrolled: 1-line block ×3, first 2 shown]
	s_delay_alu instid0(VALU_DEP_1) | instskip(NEXT) | instid1(VALU_DEP_3)
	v_add_f64_e64 v[20:21], v[24:25], -v[8:9]
	v_mul_f64_e32 v[22:23], v[18:19], v[8:9]
	v_add_f64_e64 v[24:25], v[18:19], -v[26:27]
	s_delay_alu instid0(VALU_DEP_3) | instskip(NEXT) | instid1(VALU_DEP_3)
	v_add_f64_e32 v[16:17], v[16:17], v[20:21]
	v_fma_f64 v[20:21], v[18:19], v[8:9], -v[22:23]
	s_delay_alu instid0(VALU_DEP_3) | instskip(NEXT) | instid1(VALU_DEP_2)
	v_add_f64_e64 v[24:25], v[28:29], -v[24:25]
	v_fmac_f64_e32 v[20:21], v[18:19], v[16:17]
	v_cvt_f64_i32_e32 v[16:17], v11
	s_delay_alu instid0(VALU_DEP_2) | instskip(NEXT) | instid1(VALU_DEP_2)
	v_fmac_f64_e32 v[20:21], v[24:25], v[8:9]
	v_mul_f64_e32 v[24:25], 0x3fe62e42fefa39ef, v[16:17]
	s_delay_alu instid0(VALU_DEP_2) | instskip(NEXT) | instid1(VALU_DEP_1)
	v_add_f64_e32 v[8:9], v[22:23], v[20:21]
	v_add_f64_e64 v[18:19], v[8:9], -v[22:23]
	v_add_f64_e32 v[22:23], v[14:15], v[8:9]
	s_delay_alu instid0(VALU_DEP_2) | instskip(NEXT) | instid1(VALU_DEP_2)
	v_add_f64_e64 v[18:19], v[20:21], -v[18:19]
	v_add_f64_e64 v[14:15], v[22:23], -v[14:15]
	v_fma_f64 v[20:21], v[16:17], s[6:7], -v[24:25]
	s_delay_alu instid0(VALU_DEP_3) | instskip(NEXT) | instid1(VALU_DEP_3)
	v_add_f64_e32 v[12:13], v[12:13], v[18:19]
	v_add_f64_e64 v[8:9], v[8:9], -v[14:15]
	s_delay_alu instid0(VALU_DEP_3) | instskip(NEXT) | instid1(VALU_DEP_2)
	v_fmac_f64_e32 v[20:21], 0x3c7abc9e3b39803f, v[16:17]
	v_add_f64_e32 v[8:9], v[12:13], v[8:9]
	s_delay_alu instid0(VALU_DEP_2) | instskip(NEXT) | instid1(VALU_DEP_2)
	v_add_f64_e32 v[12:13], v[24:25], v[20:21]
	v_add_f64_e32 v[14:15], v[22:23], v[8:9]
	s_delay_alu instid0(VALU_DEP_2) | instskip(NEXT) | instid1(VALU_DEP_2)
	v_add_f64_e64 v[24:25], v[12:13], -v[24:25]
	v_add_f64_e32 v[16:17], v[12:13], v[14:15]
	v_add_f64_e64 v[22:23], v[14:15], -v[22:23]
	s_delay_alu instid0(VALU_DEP_3) | instskip(NEXT) | instid1(VALU_DEP_3)
	v_add_f64_e64 v[20:21], v[20:21], -v[24:25]
	v_add_f64_e64 v[18:19], v[16:17], -v[12:13]
	s_delay_alu instid0(VALU_DEP_3) | instskip(NEXT) | instid1(VALU_DEP_2)
	v_add_f64_e64 v[8:9], v[8:9], -v[22:23]
	v_add_f64_e64 v[26:27], v[16:17], -v[18:19]
	;; [unrolled: 1-line block ×3, first 2 shown]
	s_delay_alu instid0(VALU_DEP_3) | instskip(NEXT) | instid1(VALU_DEP_3)
	v_add_f64_e32 v[18:19], v[20:21], v[8:9]
	v_add_f64_e64 v[12:13], v[12:13], -v[26:27]
	s_delay_alu instid0(VALU_DEP_1) | instskip(NEXT) | instid1(VALU_DEP_3)
	v_add_f64_e32 v[12:13], v[14:15], v[12:13]
	v_add_f64_e64 v[14:15], v[18:19], -v[20:21]
	s_delay_alu instid0(VALU_DEP_2) | instskip(NEXT) | instid1(VALU_DEP_2)
	v_add_f64_e32 v[12:13], v[18:19], v[12:13]
	v_add_f64_e64 v[18:19], v[18:19], -v[14:15]
	v_add_f64_e64 v[8:9], v[8:9], -v[14:15]
	s_delay_alu instid0(VALU_DEP_3) | instskip(NEXT) | instid1(VALU_DEP_3)
	v_add_f64_e32 v[22:23], v[16:17], v[12:13]
	v_add_f64_e64 v[14:15], v[20:21], -v[18:19]
	s_delay_alu instid0(VALU_DEP_2) | instskip(NEXT) | instid1(VALU_DEP_2)
	v_add_f64_e64 v[16:17], v[22:23], -v[16:17]
	v_add_f64_e32 v[8:9], v[8:9], v[14:15]
	s_delay_alu instid0(VALU_DEP_2) | instskip(NEXT) | instid1(VALU_DEP_1)
	v_add_f64_e64 v[12:13], v[12:13], -v[16:17]
	v_add_f64_e32 v[8:9], v[8:9], v[12:13]
	s_delay_alu instid0(VALU_DEP_1) | instskip(NEXT) | instid1(VALU_DEP_1)
	v_add_f64_e32 v[12:13], v[22:23], v[8:9]
	v_add_f64_e64 v[14:15], v[12:13], -v[22:23]
	v_mul_f64_e32 v[16:17], v[6:7], v[12:13]
	v_mov_b64_e32 v[22:23], 0x3ec71dee623fde64
	s_delay_alu instid0(VALU_DEP_3) | instskip(NEXT) | instid1(VALU_DEP_3)
	v_add_f64_e64 v[8:9], v[8:9], -v[14:15]
	v_fma_f64 v[12:13], v[6:7], v[12:13], -v[16:17]
	v_cmp_class_f64_e64 vcc_lo, v[16:17], 0x204
	s_delay_alu instid0(VALU_DEP_2) | instskip(NEXT) | instid1(VALU_DEP_1)
	v_fmac_f64_e32 v[12:13], v[6:7], v[8:9]
	v_add_f64_e32 v[8:9], v[16:17], v[12:13]
	s_delay_alu instid0(VALU_DEP_1) | instskip(SKIP_3) | instid1(VALU_DEP_4)
	v_dual_cndmask_b32 v15, v9, v17 :: v_dual_cndmask_b32 v14, v8, v16
	v_add_f64_e64 v[8:9], v[8:9], -v[16:17]
	v_mul_f64_e32 v[16:17], 0.5, v[6:7]
	v_cmp_eq_f64_e32 vcc_lo, 0, v[4:5]
	v_mul_f64_e32 v[18:19], 0x3ff71547652b82fe, v[14:15]
	v_cmp_nlt_f64_e64 s2, 0x40900000, v[14:15]
	v_cmp_ngt_f64_e64 s3, 0xc090cc00, v[14:15]
	v_cmp_neq_f64_e64 s4, 0x7ff00000, |v[14:15]|
	v_add_f64_e64 v[8:9], v[12:13], -v[8:9]
	v_trunc_f64_e32 v[12:13], v[6:7]
	s_or_b32 s5, vcc_lo, s5
	s_and_b32 s6, vcc_lo, exec_lo
	v_rndne_f64_e32 v[18:19], v[18:19]
	s_cselect_b32 s6, 0, 0x7ff00000
	s_and_b32 vcc_lo, s3, s2
	s_delay_alu instid0(VALU_DEP_3) | instskip(NEXT) | instid1(VALU_DEP_2)
	v_dual_cndmask_b32 v9, 0, v9, s4 :: v_dual_cndmask_b32 v8, 0, v8, s4
	v_fmamk_f64 v[20:21], v[18:19], 0xbfe62e42fefa39ef, v[14:15]
	v_cvt_i32_f64_e32 v11, v[18:19]
	v_trunc_f64_e32 v[14:15], v[16:17]
	s_delay_alu instid0(VALU_DEP_3) | instskip(NEXT) | instid1(VALU_DEP_1)
	v_fmac_f64_e32 v[20:21], 0xbc7abc9e3b39803f, v[18:19]
	v_fmac_f64_e32 v[2:3], 0x3e5ade156a5dcb37, v[20:21]
	s_delay_alu instid0(VALU_DEP_1) | instskip(SKIP_1) | instid1(VALU_DEP_1)
	v_fmac_f64_e32 v[22:23], v[20:21], v[2:3]
	v_mov_b64_e32 v[2:3], 0x3efa01997c89e6b0
	v_fmac_f64_e32 v[2:3], v[20:21], v[22:23]
	v_mov_b64_e32 v[22:23], 0x3f2a01a014761f6e
	s_delay_alu instid0(VALU_DEP_1) | instskip(SKIP_1) | instid1(VALU_DEP_1)
	v_fmac_f64_e32 v[22:23], v[20:21], v[2:3]
	v_mov_b64_e32 v[2:3], 0x3f56c16c1852b7b0
	v_fmac_f64_e32 v[2:3], v[20:21], v[22:23]
	v_mov_b64_e32 v[22:23], 0x3f81111111122322
	;; [unrolled: 5-line block ×3, first 2 shown]
	s_delay_alu instid0(VALU_DEP_1) | instskip(SKIP_1) | instid1(VALU_DEP_1)
	v_fmac_f64_e32 v[22:23], v[20:21], v[2:3]
	v_mov_b64_e32 v[2:3], 0x3fe000000000000b
	v_fmac_f64_e32 v[2:3], v[20:21], v[22:23]
	s_delay_alu instid0(VALU_DEP_1) | instskip(NEXT) | instid1(VALU_DEP_1)
	v_fma_f64 v[2:3], v[20:21], v[2:3], 1.0
	v_fma_f64 v[2:3], v[20:21], v[2:3], 1.0
	s_delay_alu instid0(VALU_DEP_1) | instskip(NEXT) | instid1(VALU_DEP_1)
	v_ldexp_f64 v[2:3], v[2:3], v11
	v_cndmask_b32_e64 v3, 0x7ff00000, v3, s2
	s_delay_alu instid0(VALU_DEP_2) | instskip(SKIP_2) | instid1(VALU_DEP_4)
	v_cndmask_b32_e32 v2, 0, v2, vcc_lo
	v_cmp_eq_f64_e32 vcc_lo, v[12:13], v[6:7]
	v_cmp_neq_f64_e64 s2, v[14:15], v[16:17]
	v_cndmask_b32_e64 v3, 0, v3, s3
	s_delay_alu instid0(VALU_DEP_1) | instskip(SKIP_1) | instid1(VALU_DEP_2)
	v_mov_b64_e32 v[18:19], v[2:3]
	v_cmp_class_f64_e64 s3, v[2:3], 0x204
	v_fmac_f64_e32 v[18:19], v[18:19], v[8:9]
	s_and_b32 vcc_lo, vcc_lo, s2
	v_cndmask_b32_e32 v4, 0, v5, vcc_lo
	v_cndmask_b32_e32 v5, 0x3ff00000, v5, vcc_lo
	s_delay_alu instid0(VALU_DEP_2) | instskip(NEXT) | instid1(VALU_DEP_4)
	v_bfi_b32 v4, 0x7fffffff, s6, v4
	v_dual_cndmask_b32 v3, v19, v3, s3 :: v_dual_cndmask_b32 v2, v18, v2, s3
	s_add_nc_u64 s[2:3], s[0:1], 0x70
	s_load_b32 s2, s[2:3], 0x0
	s_delay_alu instid0(VALU_DEP_1) | instskip(NEXT) | instid1(VALU_DEP_2)
	v_bfi_b32 v3, 0x7fffffff, v3, v5
	v_cndmask_b32_e64 v2, v2, 0, s5
	s_wait_xcnt 0x0
	s_mul_f32 s3, s35, 0x37800000
	s_delay_alu instid0(VALU_DEP_2) | instskip(SKIP_1) | instid1(SALU_CYCLE_1)
	v_cndmask_b32_e64 v3, v3, v4, s5
	s_load_b512 s[4:19], s[0:1], 0x0
	v_mov_b32_e32 v8, s3
	s_wait_xcnt 0x0
	v_cmp_gt_f32_e64 s0, 0xf800000, v10
	s_mul_f32 s1, s20, s23
	v_add_f64_e64 v[2:3], -v[2:3], 1.0
	s_sub_f32 s3, 1.0, s22
	s_wait_kmcnt 0x0
	s_mul_i32 s26, s2, s33
	s_sub_f32 s33, 1.0, s21
	s_mov_b32 s2, s22
	s_delay_alu instid0(VALU_DEP_1) | instskip(NEXT) | instid1(VALU_DEP_1)
	v_cvt_f32_f64_e32 v4, v[2:3]
	v_div_scale_f32 v2, null, v4, v4, s20
	s_delay_alu instid0(VALU_DEP_1)
	v_rcp_f32_e32 v3, v2
	v_nop
	v_xor_b32_e32 v2, 0x80000000, v2
	s_delay_alu instid0(TRANS32_DEP_1) | instid1(VALU_DEP_1)
	v_fma_f32 v5, v2, v3, 1.0
	s_delay_alu instid0(VALU_DEP_1) | instskip(SKIP_1) | instid1(VALU_DEP_1)
	v_fmac_f32_e32 v3, v5, v3
	v_div_scale_f32 v5, vcc_lo, s20, v4, s20
	v_mul_f32_e32 v6, v5, v3
	s_delay_alu instid0(VALU_DEP_1) | instskip(NEXT) | instid1(VALU_DEP_1)
	v_fma_f32 v7, v2, v6, v5
	v_dual_fmac_f32 v6, v7, v3 :: v_dual_cndmask_b32 v7, s35, v8, s0
	v_cmp_class_f32_e64 s0, s34, 0x260
	s_delay_alu instid0(VALU_DEP_2) | instskip(NEXT) | instid1(VALU_DEP_1)
	v_fmac_f32_e32 v5, v2, v6
	v_div_fmas_f32 v5, v5, v3, v6
	v_lshlrev_b64_e32 v[2:3], 2, v[0:1]
	s_delay_alu instid0(VALU_DEP_4) | instskip(SKIP_1) | instid1(VALU_DEP_3)
	v_cndmask_b32_e64 v6, v7, s34, s0
	s_lshl_b64 s[34:35], s[26:27], 2
	v_div_fixup_f32 v7, v5, v4, s20
	s_mov_b32 s20, s27
	s_branch .LBB0_3
.LBB0_2:                                ;   in Loop: Header=BB0_3 Depth=1
	s_delay_alu instid0(VALU_DEP_1)
	v_mul_f32_e32 v11, 0x4f800000, v5
	v_cmp_gt_f32_e32 vcc_lo, 0xf800000, v5
	v_add_nc_u64_e32 v[0:1], s[26:27], v[0:1]
	s_add_nc_u64 s[30:31], s[30:31], s[34:35]
	s_add_nc_u64 s[18:19], s[18:19], s[34:35]
	;; [unrolled: 1-line block ×3, first 2 shown]
	s_wait_xcnt 0x0
	v_cndmask_b32_e32 v5, v5, v11, vcc_lo
	s_add_nc_u64 s[10:11], s[10:11], s[34:35]
	s_add_nc_u64 s[4:5], s[4:5], s[34:35]
	;; [unrolled: 1-line block ×3, first 2 shown]
	v_mul_f32_e32 v10, s33, v10
	v_sqrt_f32_e32 v11, v5
	v_nop
	s_delay_alu instid0(TRANS32_DEP_1) | instskip(NEXT) | instid1(VALU_DEP_1)
	v_dual_add_nc_u32 v12, -1, v11 :: v_dual_add_nc_u32 v13, 1, v11
	v_fma_f32 v14, -v12, v11, v5
	s_delay_alu instid0(VALU_DEP_1) | instskip(NEXT) | instid1(VALU_DEP_1)
	v_cmp_ge_f32_e64 s0, 0, v14
	v_dual_fma_f32 v15, -v13, v11, v5 :: v_dual_cndmask_b32 v11, v11, v12, s0
	s_delay_alu instid0(VALU_DEP_1) | instskip(NEXT) | instid1(VALU_DEP_1)
	v_cmp_lt_f32_e64 s0, 0, v15
	v_cndmask_b32_e64 v11, v11, v13, s0
	s_delay_alu instid0(VALU_DEP_1) | instskip(NEXT) | instid1(VALU_DEP_1)
	v_mul_f32_e32 v12, 0x37800000, v11
	v_cndmask_b32_e32 v11, v11, v12, vcc_lo
	v_cmp_class_f32_e64 vcc_lo, v5, 0x260
	s_delay_alu instid0(VALU_DEP_2) | instskip(NEXT) | instid1(VALU_DEP_1)
	v_cndmask_b32_e32 v5, v11, v5, vcc_lo
	v_div_scale_f32 v11, null, v6, v6, v5
	v_div_scale_f32 v14, vcc_lo, v5, v6, v5
	s_delay_alu instid0(VALU_DEP_2) | instskip(SKIP_1) | instid1(TRANS32_DEP_1)
	v_rcp_f32_e32 v12, v11
	v_nop
	v_fma_f32 v13, -v11, v12, 1.0
	s_delay_alu instid0(VALU_DEP_1) | instskip(NEXT) | instid1(VALU_DEP_1)
	v_fmac_f32_e32 v12, v13, v12
	v_mul_f32_e32 v13, v14, v12
	s_delay_alu instid0(VALU_DEP_1) | instskip(NEXT) | instid1(VALU_DEP_1)
	v_fma_f32 v15, -v11, v13, v14
	v_fmac_f32_e32 v13, v15, v12
	s_delay_alu instid0(VALU_DEP_1) | instskip(NEXT) | instid1(VALU_DEP_1)
	v_fma_f32 v11, -v11, v13, v14
	v_div_fmas_f32 v11, v11, v12, v13
	v_dual_mul_f32 v12, s21, v9 :: v_dual_mov_b32 v13, s24
	s_delay_alu instid0(VALU_DEP_2) | instskip(NEXT) | instid1(VALU_DEP_1)
	v_div_fixup_f32 v11, v11, v6, v5
	v_pk_add_f32 v[10:11], v[12:13], v[10:11]
	s_delay_alu instid0(VALU_DEP_1) | instskip(NEXT) | instid1(VALU_DEP_1)
	v_mul_f32_e32 v5, v7, v10
	v_div_scale_f32 v9, null, v11, v11, v5
	v_div_scale_f32 v14, vcc_lo, v5, v11, v5
	s_delay_alu instid0(VALU_DEP_2) | instskip(SKIP_1) | instid1(TRANS32_DEP_1)
	v_rcp_f32_e32 v16, v9
	v_nop
	v_fma_f32 v12, -v9, v16, 1.0
	s_delay_alu instid0(VALU_DEP_1) | instskip(NEXT) | instid1(VALU_DEP_1)
	v_fmac_f32_e32 v16, v12, v16
	v_mul_f32_e32 v17, v14, v16
	s_delay_alu instid0(VALU_DEP_1) | instskip(NEXT) | instid1(VALU_DEP_1)
	v_fma_f32 v12, -v9, v17, v14
	v_fmac_f32_e32 v17, v12, v16
	v_add_nc_u64_e32 v[12:13], s[6:7], v[2:3]
	s_add_nc_u64 s[6:7], s[6:7], s[34:35]
	s_delay_alu instid0(VALU_DEP_2) | instskip(SKIP_2) | instid1(VALU_DEP_2)
	v_fma_f32 v9, -v9, v17, v14
	v_add_nc_u64_e32 v[14:15], s[12:13], v[2:3]
	s_add_nc_u64 s[12:13], s[12:13], s[34:35]
	v_div_fmas_f32 v9, v9, v16, v17
	v_cmp_le_u64_e32 vcc_lo, s[28:29], v[0:1]
	v_add_nc_u64_e32 v[16:17], s[16:17], v[2:3]
	s_add_nc_u64 s[16:17], s[16:17], s[34:35]
	s_delay_alu instid0(VALU_DEP_3) | instskip(SKIP_1) | instid1(VALU_DEP_1)
	v_div_fixup_f32 v5, v9, v11, v5
	s_or_b32 s20, vcc_lo, s20
	v_sub_f32_e32 v5, v8, v5
	global_store_b32 v[12:13], v5, off
	global_store_b32 v[14:15], v10, off
	;; [unrolled: 1-line block ×3, first 2 shown]
	s_wait_xcnt 0x0
	s_and_not1_b32 exec_lo, exec_lo, s20
	s_cbranch_execz .LBB0_11
.LBB0_3:                                ; =>This Inner Loop Header: Depth=1
	s_delay_alu instid0(VALU_DEP_3)
	v_add_nc_u64_e32 v[10:11], s[8:9], v[2:3]
	v_add_nc_u64_e32 v[12:13], s[4:5], v[2:3]
	;; [unrolled: 1-line block ×4, first 2 shown]
	s_and_not1_b32 vcc_lo, exec_lo, s38
	global_load_b32 v5, v[10:11], off
	global_load_b32 v8, v[12:13], off
	global_load_b32 v9, v[14:15], off
	global_load_b32 v4, v[16:17], off
	s_wait_loadcnt 0x3
	s_wait_xcnt 0x3
	v_cndmask_b32_e64 v10, v5, -v5, s36
	s_cbranch_vccnz .LBB0_9
; %bb.4:                                ;   in Loop: Header=BB0_3 Depth=1
	s_and_b32 vcc_lo, exec_lo, s37
	s_mov_b32 s0, -1
                                        ; implicit-def: $vgpr5
	s_cbranch_vccz .LBB0_6
; %bb.5:                                ;   in Loop: Header=BB0_3 Depth=1
	s_wait_loadcnt 0x2
	v_fma_f32 v5, s23, v8, v10
	s_mov_b32 s0, 0
.LBB0_6:                                ;   in Loop: Header=BB0_3 Depth=1
	s_delay_alu instid0(SALU_CYCLE_1)
	s_and_not1_b32 vcc_lo, exec_lo, s0
	s_cbranch_vccnz .LBB0_8
; %bb.7:                                ;   in Loop: Header=BB0_3 Depth=1
	s_wait_loadcnt 0x2
	v_fma_f32 v8, -s1, v8, v8
	s_branch .LBB0_9
.LBB0_8:                                ;   in Loop: Header=BB0_3 Depth=1
	s_delay_alu instid0(VALU_DEP_1)
	v_mov_b32_e32 v10, v5
.LBB0_9:                                ;   in Loop: Header=BB0_3 Depth=1
	s_wait_xcnt 0x2
	v_mov_b64_e32 v[12:13], s[2:3]
	s_delay_alu instid0(VALU_DEP_2) | instskip(SKIP_2) | instid1(VALU_DEP_1)
	v_mul_f32_e32 v5, v10, v10
	s_and_not1_b32 vcc_lo, exec_lo, s25
	s_wait_loadcnt 0x0
	v_pk_mul_f32 v[4:5], v[12:13], v[4:5]
	s_delay_alu instid0(VALU_DEP_1) | instskip(NEXT) | instid1(VALU_DEP_1)
	v_add_f32_e32 v4, v4, v5
	v_mov_b32_e32 v5, v4
	s_cbranch_vccnz .LBB0_2
; %bb.10:                               ;   in Loop: Header=BB0_3 Depth=1
	v_add_nc_u64_e32 v[12:13], s[18:19], v[2:3]
	v_max_num_f32_e32 v11, v4, v4
	global_load_b32 v5, v[12:13], off
	s_wait_xcnt 0x0
	v_add_nc_u64_e32 v[12:13], s[30:31], v[2:3]
	s_wait_loadcnt 0x0
	v_max_num_f32_e32 v5, v5, v5
	s_delay_alu instid0(VALU_DEP_1)
	v_max_num_f32_e32 v5, v5, v11
	global_store_b32 v[12:13], v5, off
	s_branch .LBB0_2
.LBB0_11:
	s_endpgm
	.section	.rodata,"a",@progbits
	.p2align	6, 0x0
	.amdhsa_kernel AdamContiguous
		.amdhsa_group_segment_fixed_size 0
		.amdhsa_private_segment_fixed_size 0
		.amdhsa_kernarg_size 368
		.amdhsa_user_sgpr_count 2
		.amdhsa_user_sgpr_dispatch_ptr 0
		.amdhsa_user_sgpr_queue_ptr 0
		.amdhsa_user_sgpr_kernarg_segment_ptr 1
		.amdhsa_user_sgpr_dispatch_id 0
		.amdhsa_user_sgpr_kernarg_preload_length 0
		.amdhsa_user_sgpr_kernarg_preload_offset 0
		.amdhsa_user_sgpr_private_segment_size 0
		.amdhsa_wavefront_size32 1
		.amdhsa_uses_dynamic_stack 0
		.amdhsa_enable_private_segment 0
		.amdhsa_system_sgpr_workgroup_id_x 1
		.amdhsa_system_sgpr_workgroup_id_y 0
		.amdhsa_system_sgpr_workgroup_id_z 0
		.amdhsa_system_sgpr_workgroup_info 0
		.amdhsa_system_vgpr_workitem_id 0
		.amdhsa_next_free_vgpr 31
		.amdhsa_next_free_sgpr 39
		.amdhsa_named_barrier_count 0
		.amdhsa_reserve_vcc 1
		.amdhsa_float_round_mode_32 0
		.amdhsa_float_round_mode_16_64 0
		.amdhsa_float_denorm_mode_32 3
		.amdhsa_float_denorm_mode_16_64 3
		.amdhsa_fp16_overflow 0
		.amdhsa_memory_ordered 1
		.amdhsa_forward_progress 1
		.amdhsa_inst_pref_size 35
		.amdhsa_round_robin_scheduling 0
		.amdhsa_exception_fp_ieee_invalid_op 0
		.amdhsa_exception_fp_denorm_src 0
		.amdhsa_exception_fp_ieee_div_zero 0
		.amdhsa_exception_fp_ieee_overflow 0
		.amdhsa_exception_fp_ieee_underflow 0
		.amdhsa_exception_fp_ieee_inexact 0
		.amdhsa_exception_int_div_zero 0
	.end_amdhsa_kernel
	.text
.Lfunc_end0:
	.size	AdamContiguous, .Lfunc_end0-AdamContiguous
                                        ; -- End function
	.set AdamContiguous.num_vgpr, 31
	.set AdamContiguous.num_agpr, 0
	.set AdamContiguous.numbered_sgpr, 39
	.set AdamContiguous.num_named_barrier, 0
	.set AdamContiguous.private_seg_size, 0
	.set AdamContiguous.uses_vcc, 1
	.set AdamContiguous.uses_flat_scratch, 0
	.set AdamContiguous.has_dyn_sized_stack, 0
	.set AdamContiguous.has_recursion, 0
	.set AdamContiguous.has_indirect_call, 0
	.section	.AMDGPU.csdata,"",@progbits
; Kernel info:
; codeLenInByte = 4384
; TotalNumSgprs: 41
; NumVgprs: 31
; ScratchSize: 0
; MemoryBound: 0
; FloatMode: 240
; IeeeMode: 1
; LDSByteSize: 0 bytes/workgroup (compile time only)
; SGPRBlocks: 0
; VGPRBlocks: 1
; NumSGPRsForWavesPerEU: 41
; NumVGPRsForWavesPerEU: 31
; NamedBarCnt: 0
; Occupancy: 16
; WaveLimiterHint : 0
; COMPUTE_PGM_RSRC2:SCRATCH_EN: 0
; COMPUTE_PGM_RSRC2:USER_SGPR: 2
; COMPUTE_PGM_RSRC2:TRAP_HANDLER: 0
; COMPUTE_PGM_RSRC2:TGID_X_EN: 1
; COMPUTE_PGM_RSRC2:TGID_Y_EN: 0
; COMPUTE_PGM_RSRC2:TGID_Z_EN: 0
; COMPUTE_PGM_RSRC2:TIDIG_COMP_CNT: 0
	.text
	.protected	AmpAdamContiguousWithStep ; -- Begin function AmpAdamContiguousWithStep
	.globl	AmpAdamContiguousWithStep
	.p2align	8
	.type	AmpAdamContiguousWithStep,@function
AmpAdamContiguousWithStep:              ; @AmpAdamContiguousWithStep
; %bb.0:
	s_clause 0x1
	s_load_b32 s2, s[0:1], 0x94
	s_load_b64 s[6:7], s[0:1], 0x80
	s_bfe_u32 s3, ttmp6, 0x4000c
	s_and_b32 s4, ttmp6, 15
	s_add_co_i32 s3, s3, 1
	s_getreg_b32 s5, hwreg(HW_REG_IB_STS2, 6, 4)
	s_mul_i32 s3, ttmp9, s3
	v_mov_b32_e32 v3, 0
	s_add_co_i32 s4, s4, s3
	s_cmp_eq_u32 s5, 0
	s_cselect_b32 s55, ttmp9, s4
	s_wait_kmcnt 0x0
	s_and_b32 s2, s2, 0xffff
	s_delay_alu instid0(SALU_CYCLE_1) | instskip(SKIP_1) | instid1(VALU_DEP_1)
	v_mad_u32 v2, s55, s2, v0
	s_mov_b32 s2, exec_lo
	v_cmpx_gt_u64_e64 s[6:7], v[2:3]
	s_cbranch_execz .LBB1_34
; %bb.1:
	s_clause 0x1
	s_load_b64 s[34:35], s[0:1], 0x78
	s_load_b256 s[24:31], s[0:1], 0x40
	s_add_nc_u64 s[2:3], s[0:1], 0x88
	s_load_b512 s[8:23], s[0:1], 0x0
	s_load_b32 s54, s[2:3], 0x0
	s_wait_kmcnt 0x0
	s_bitcmp1_b32 s35, 0
	s_cselect_b32 s33, -1, 0
	s_cmp_eq_u64 s[30:31], 0
	s_cselect_b32 s4, -1, 0
	s_delay_alu instid0(SALU_CYCLE_1)
	s_and_b32 vcc_lo, exec_lo, s4
	s_cbranch_vccnz .LBB1_17
; %bb.2:
	s_load_u8 s4, s[30:31], 0x0
	s_mov_b32 s5, 0
	s_wait_kmcnt 0x0
	s_cmp_lg_u32 s4, 0
	s_cbranch_scc0 .LBB1_33
; %bb.3:
	s_cmp_lt_u32 s55, s54
	v_mov_b32_e32 v3, 0
	s_cselect_b32 s4, 12, 18
	s_mov_b32 s35, exec_lo
	s_add_nc_u64 s[4:5], s[2:3], s[4:5]
	s_load_u16 s4, s[4:5], 0x0
	s_wait_kmcnt 0x0
	v_mad_u32 v2, s55, s4, v0
	s_delay_alu instid0(VALU_DEP_1)
	v_cmpx_gt_u64_e64 s[6:7], v[2:3]
	s_cbranch_execz .LBB1_16
; %bb.4:
	s_cmp_lg_u64 s[8:9], s[10:11]
	v_lshlrev_b64_e32 v[4:5], 2, v[2:3]
	s_cselect_b32 s56, -1, 0
	s_cmp_lg_u64 s[12:13], 0
	v_lshl_add_u64 v[6:7], v[2:3], 1, s[12:13]
	s_cselect_b32 s57, -1, 0
	s_cmp_lg_u64 s[16:17], s[18:19]
	s_mul_i32 s4, s54, s4
	s_cselect_b32 s58, -1, 0
	s_cmp_lg_u64 s[20:21], s[22:23]
	s_mov_b32 s5, 0
	s_cselect_b32 s59, -1, 0
	s_cmp_lg_u64 s[24:25], s[26:27]
	s_mov_b32 s61, s5
	s_cselect_b32 s38, -1, 0
	s_lshl_b64 s[30:31], s[4:5], 2
	s_lshl_b64 s[36:37], s[4:5], 1
	s_and_b32 s60, s38, s33
	s_mov_b64 s[38:39], s[26:27]
	s_mov_b64 s[40:41], s[24:25]
	;; [unrolled: 1-line block ×8, first 2 shown]
	s_branch .LBB1_6
.LBB1_5:                                ;   in Loop: Header=BB1_6 Depth=1
	v_add_nc_u64_e32 v[2:3], s[4:5], v[2:3]
	s_wait_xcnt 0x0
	v_add_nc_u64_e32 v[6:7], s[36:37], v[6:7]
	s_add_nc_u64 s[52:53], s[52:53], s[30:31]
	s_add_nc_u64 s[50:51], s[50:51], s[30:31]
	;; [unrolled: 1-line block ×5, first 2 shown]
	v_cmp_le_u64_e32 vcc_lo, s[6:7], v[2:3]
	s_add_nc_u64 s[42:43], s[42:43], s[30:31]
	s_add_nc_u64 s[40:41], s[40:41], s[30:31]
	;; [unrolled: 1-line block ×3, first 2 shown]
	s_or_b32 s61, vcc_lo, s61
	s_delay_alu instid0(SALU_CYCLE_1)
	s_and_not1_b32 exec_lo, exec_lo, s61
	s_cbranch_execz .LBB1_16
.LBB1_6:                                ; =>This Inner Loop Header: Depth=1
	v_add_nc_u64_e32 v[8:9], s[52:53], v[4:5]
	s_and_not1_b32 vcc_lo, exec_lo, s56
	s_cbranch_vccnz .LBB1_8
; %bb.7:                                ;   in Loop: Header=BB1_6 Depth=1
	global_load_b32 v1, v[8:9], off
	v_add_nc_u64_e32 v[10:11], s[50:51], v[4:5]
	s_wait_loadcnt 0x0
	global_store_b32 v[10:11], v1, off
.LBB1_8:                                ;   in Loop: Header=BB1_6 Depth=1
	s_and_not1_b32 vcc_lo, exec_lo, s57
	s_cbranch_vccnz .LBB1_10
; %bb.9:                                ;   in Loop: Header=BB1_6 Depth=1
	global_load_b32 v1, v[8:9], off
	s_wait_loadcnt 0x0
	v_cvt_f16_f32_e32 v1, v1
	global_store_b16 v[6:7], v1, off
.LBB1_10:                               ;   in Loop: Header=BB1_6 Depth=1
	s_and_not1_b32 vcc_lo, exec_lo, s58
	s_cbranch_vccnz .LBB1_12
; %bb.11:                               ;   in Loop: Header=BB1_6 Depth=1
	s_wait_xcnt 0x1
	v_add_nc_u64_e32 v[8:9], s[48:49], v[4:5]
	global_load_b32 v1, v[8:9], off
	s_wait_xcnt 0x0
	v_add_nc_u64_e32 v[8:9], s[46:47], v[4:5]
	s_wait_loadcnt 0x0
	global_store_b32 v[8:9], v1, off
.LBB1_12:                               ;   in Loop: Header=BB1_6 Depth=1
	s_and_not1_b32 vcc_lo, exec_lo, s59
	s_cbranch_vccnz .LBB1_14
; %bb.13:                               ;   in Loop: Header=BB1_6 Depth=1
	s_wait_xcnt 0x0
	v_add_nc_u64_e32 v[8:9], s[44:45], v[4:5]
	global_load_b32 v1, v[8:9], off
	s_wait_xcnt 0x0
	v_add_nc_u64_e32 v[8:9], s[42:43], v[4:5]
	s_wait_loadcnt 0x0
	global_store_b32 v[8:9], v1, off
.LBB1_14:                               ;   in Loop: Header=BB1_6 Depth=1
	s_and_not1_b32 vcc_lo, exec_lo, s60
	s_cbranch_vccnz .LBB1_5
; %bb.15:                               ;   in Loop: Header=BB1_6 Depth=1
	s_wait_xcnt 0x0
	v_add_nc_u64_e32 v[8:9], s[40:41], v[4:5]
	global_load_b32 v1, v[8:9], off
	s_wait_xcnt 0x0
	v_add_nc_u64_e32 v[8:9], s[38:39], v[4:5]
	s_wait_loadcnt 0x0
	global_store_b32 v[8:9], v1, off
	s_branch .LBB1_5
.LBB1_16:
	s_or_b32 exec_lo, exec_lo, s35
	s_mov_b32 s4, 0
.LBB1_17:
	s_delay_alu instid0(SALU_CYCLE_1)
	s_and_b32 vcc_lo, exec_lo, s4
	s_cbranch_vccz .LBB1_34
.LBB1_18:
	s_load_b64 s[4:5], s[0:1], 0x60
	s_cmp_lt_u32 s55, s54
	v_dual_mov_b32 v1, 0 :: v_dual_mov_b32 v12, 1.0
	s_mov_b32 s31, 0
	s_cselect_b32 s30, 12, 18
	s_cmp_eq_u64 s[28:29], 0
	s_add_nc_u64 s[2:3], s[2:3], s[30:31]
	global_load_u16 v3, v1, s[2:3]
	s_wait_kmcnt 0x0
	global_load_b32 v2, v1, s[4:5]
	s_wait_xcnt 0x1
	s_cselect_b32 s2, -1, 0
	s_delay_alu instid0(SALU_CYCLE_1)
	s_and_b32 vcc_lo, exec_lo, s2
	s_wait_loadcnt 0x1
	v_readfirstlane_b32 s3, v3
	s_cbranch_vccnz .LBB1_20
; %bb.19:
	global_load_b32 v3, v1, s[28:29]
	s_wait_loadcnt 0x0
	v_cvt_f32_i32_e32 v12, v3
.LBB1_20:
	s_and_b32 s35, 0xffff, s3
	s_delay_alu instid0(SALU_CYCLE_1) | instskip(NEXT) | instid1(VALU_DEP_1)
	v_mad_u32 v0, s55, s35, v0
	v_cmp_gt_u64_e32 vcc_lo, s[6:7], v[0:1]
	s_wait_xcnt 0x0
	s_and_b32 exec_lo, exec_lo, vcc_lo
	s_cbranch_execz .LBB1_34
; %bb.21:
	s_clause 0x1
	s_load_b128 s[28:31], s[0:1], 0x68
	s_load_b32 s5, s[0:1], 0x7c
	s_mov_b64 s[38:39], 0x3fe5555555555555
	s_mov_b64 s[36:37], 0x3fe62e42fefa39ef
	s_wait_kmcnt 0x0
	s_cmp_neq_f32 s30, 1.0
	v_cvt_f64_f32_e32 v[4:5], s30
	s_cselect_b32 vcc_lo, -1, 0
	s_wait_loadcnt 0x0
	v_add_nc_u32_e32 v2, 1, v2
	s_delay_alu instid0(VALU_DEP_1) | instskip(NEXT) | instid1(VALU_DEP_1)
	v_cvt_f64_u32_e32 v[2:3], v2
	v_cndmask_b32_e32 v11, 0x3ff00000, v3, vcc_lo
	s_delay_alu instid0(VALU_DEP_2) | instskip(NEXT) | instid1(VALU_DEP_1)
	v_cndmask_b32_e32 v10, 0, v2, vcc_lo
	v_cmp_neq_f64_e32 vcc_lo, 0, v[10:11]
	v_cndmask_b32_e32 v7, 0x3ff00000, v5, vcc_lo
	v_cndmask_b32_e32 v6, 0, v4, vcc_lo
	s_delay_alu instid0(VALU_DEP_1) | instskip(SKIP_2) | instid1(VALU_DEP_3)
	v_frexp_mant_f64_e64 v[4:5], |v[6:7]|
	v_frexp_exp_i32_f64_e32 v8, v[6:7]
	v_cmp_class_f64_e64 s4, v[6:7], 0x204
	v_cmp_gt_f64_e32 vcc_lo, s[38:39], v[4:5]
	s_delay_alu instid0(VALU_DEP_3) | instskip(SKIP_1) | instid1(VALU_DEP_1)
	v_subrev_co_ci_u32_e64 v13, null, 0, v8, vcc_lo
	v_cndmask_b32_e64 v8, 0, 1, vcc_lo
	v_ldexp_f64 v[4:5], v[4:5], v8
	s_delay_alu instid0(VALU_DEP_1) | instskip(SKIP_1) | instid1(VALU_DEP_2)
	v_add_f64_e32 v[8:9], 1.0, v[4:5]
	v_add_f64_e32 v[18:19], -1.0, v[4:5]
	v_rcp_f64_e32 v[14:15], v[8:9]
	v_add_f64_e32 v[20:21], -1.0, v[8:9]
	s_delay_alu instid0(VALU_DEP_1) | instskip(NEXT) | instid1(TRANS32_DEP_1)
	v_add_f64_e64 v[4:5], v[4:5], -v[20:21]
	v_fma_f64 v[16:17], -v[8:9], v[14:15], 1.0
	s_delay_alu instid0(VALU_DEP_1) | instskip(NEXT) | instid1(VALU_DEP_1)
	v_fmac_f64_e32 v[14:15], v[16:17], v[14:15]
	v_fma_f64 v[16:17], -v[8:9], v[14:15], 1.0
	s_delay_alu instid0(VALU_DEP_1) | instskip(NEXT) | instid1(VALU_DEP_1)
	v_fmac_f64_e32 v[14:15], v[16:17], v[14:15]
	v_mul_f64_e32 v[16:17], v[18:19], v[14:15]
	s_delay_alu instid0(VALU_DEP_1) | instskip(NEXT) | instid1(VALU_DEP_1)
	v_mul_f64_e32 v[22:23], v[8:9], v[16:17]
	v_fma_f64 v[8:9], v[16:17], v[8:9], -v[22:23]
	s_delay_alu instid0(VALU_DEP_1) | instskip(NEXT) | instid1(VALU_DEP_1)
	v_fmac_f64_e32 v[8:9], v[16:17], v[4:5]
	v_add_f64_e32 v[4:5], v[22:23], v[8:9]
	s_delay_alu instid0(VALU_DEP_1) | instskip(SKIP_1) | instid1(VALU_DEP_2)
	v_add_f64_e64 v[20:21], v[18:19], -v[4:5]
	v_add_f64_e64 v[22:23], v[4:5], -v[22:23]
	;; [unrolled: 1-line block ×3, first 2 shown]
	s_delay_alu instid0(VALU_DEP_2) | instskip(NEXT) | instid1(VALU_DEP_2)
	v_add_f64_e64 v[8:9], v[22:23], -v[8:9]
	v_add_f64_e64 v[4:5], v[18:19], -v[4:5]
	s_delay_alu instid0(VALU_DEP_1) | instskip(NEXT) | instid1(VALU_DEP_1)
	v_add_f64_e32 v[4:5], v[8:9], v[4:5]
	v_add_f64_e32 v[4:5], v[20:21], v[4:5]
	s_delay_alu instid0(VALU_DEP_1) | instskip(NEXT) | instid1(VALU_DEP_1)
	v_mul_f64_e32 v[4:5], v[14:15], v[4:5]
	v_add_f64_e32 v[14:15], v[16:17], v[4:5]
	s_delay_alu instid0(VALU_DEP_1) | instskip(SKIP_1) | instid1(VALU_DEP_2)
	v_add_f64_e64 v[8:9], v[14:15], -v[16:17]
	v_mul_f64_e32 v[16:17], v[14:15], v[14:15]
	v_add_f64_e64 v[4:5], v[4:5], -v[8:9]
	s_delay_alu instid0(VALU_DEP_2) | instskip(NEXT) | instid1(VALU_DEP_2)
	v_fma_f64 v[18:19], v[14:15], v[14:15], -v[16:17]
	v_add_f64_e32 v[8:9], v[4:5], v[4:5]
	s_delay_alu instid0(VALU_DEP_1) | instskip(SKIP_1) | instid1(VALU_DEP_2)
	v_fmac_f64_e32 v[18:19], v[14:15], v[8:9]
	v_mov_b64_e32 v[8:9], 0x3fba6564968915a9
	v_add_f64_e32 v[20:21], v[16:17], v[18:19]
	s_delay_alu instid0(VALU_DEP_1) | instskip(SKIP_2) | instid1(VALU_DEP_3)
	v_fmamk_f64 v[22:23], v[20:21], 0x3fbdee674222de17, v[8:9]
	v_add_f64_e64 v[16:17], v[20:21], -v[16:17]
	v_mul_f64_e32 v[28:29], v[14:15], v[20:21]
	v_fmaak_f64 v[22:23], v[20:21], v[22:23], 0x3fbe25e43abe935a
	s_delay_alu instid0(VALU_DEP_1) | instskip(NEXT) | instid1(VALU_DEP_1)
	v_fmaak_f64 v[22:23], v[20:21], v[22:23], 0x3fc110ef47e6c9c2
	v_fmaak_f64 v[22:23], v[20:21], v[22:23], 0x3fc3b13bcfa74449
	s_delay_alu instid0(VALU_DEP_1) | instskip(SKIP_2) | instid1(VALU_DEP_3)
	v_fmaak_f64 v[22:23], v[20:21], v[22:23], 0x3fc745d171bf3c30
	v_add_f64_e64 v[16:17], v[18:19], -v[16:17]
	v_fma_f64 v[30:31], v[20:21], v[14:15], -v[28:29]
	v_fmaak_f64 v[22:23], v[20:21], v[22:23], 0x3fcc71c71c7792ce
	s_delay_alu instid0(VALU_DEP_1) | instskip(NEXT) | instid1(VALU_DEP_1)
	v_fmaak_f64 v[22:23], v[20:21], v[22:23], 0x3fd24924924920da
	v_fmaak_f64 v[22:23], v[20:21], v[22:23], 0x3fd999999999999c
	s_delay_alu instid0(VALU_DEP_1) | instskip(SKIP_2) | instid1(VALU_DEP_3)
	v_mul_f64_e32 v[24:25], v[20:21], v[22:23]
	v_fmac_f64_e32 v[30:31], v[20:21], v[4:5]
	v_ldexp_f64 v[4:5], v[4:5], 1
	v_fma_f64 v[18:19], v[20:21], v[22:23], -v[24:25]
	s_delay_alu instid0(VALU_DEP_3) | instskip(SKIP_1) | instid1(VALU_DEP_3)
	v_fmac_f64_e32 v[30:31], v[16:17], v[14:15]
	v_ldexp_f64 v[14:15], v[14:15], 1
	v_fmac_f64_e32 v[18:19], v[16:17], v[22:23]
	s_delay_alu instid0(VALU_DEP_3) | instskip(NEXT) | instid1(VALU_DEP_2)
	v_add_f64_e32 v[20:21], v[28:29], v[30:31]
	v_add_f64_e32 v[22:23], v[24:25], v[18:19]
	s_delay_alu instid0(VALU_DEP_1) | instskip(SKIP_1) | instid1(VALU_DEP_2)
	v_add_f64_e64 v[24:25], v[22:23], -v[24:25]
	v_add_f64_e32 v[26:27], 0x3fe5555555555555, v[22:23]
	v_add_f64_e64 v[18:19], v[18:19], -v[24:25]
	s_delay_alu instid0(VALU_DEP_2) | instskip(NEXT) | instid1(VALU_DEP_2)
	v_add_f64_e32 v[24:25], 0xbfe5555555555555, v[26:27]
	v_add_f64_e32 v[18:19], 0x3c8543b0d5df274d, v[18:19]
	s_delay_alu instid0(VALU_DEP_2) | instskip(NEXT) | instid1(VALU_DEP_1)
	v_add_f64_e64 v[22:23], v[22:23], -v[24:25]
	v_add_f64_e32 v[18:19], v[18:19], v[22:23]
	s_delay_alu instid0(VALU_DEP_1) | instskip(NEXT) | instid1(VALU_DEP_1)
	v_add_f64_e32 v[16:17], v[26:27], v[18:19]
	v_add_f64_e64 v[22:23], v[26:27], -v[16:17]
	v_mul_f64_e32 v[24:25], v[20:21], v[16:17]
	v_add_f64_e64 v[26:27], v[20:21], -v[28:29]
	s_delay_alu instid0(VALU_DEP_3) | instskip(NEXT) | instid1(VALU_DEP_3)
	v_add_f64_e32 v[18:19], v[18:19], v[22:23]
	v_fma_f64 v[22:23], v[20:21], v[16:17], -v[24:25]
	s_delay_alu instid0(VALU_DEP_3) | instskip(NEXT) | instid1(VALU_DEP_2)
	v_add_f64_e64 v[26:27], v[30:31], -v[26:27]
	v_fmac_f64_e32 v[22:23], v[20:21], v[18:19]
	v_cvt_f64_i32_e32 v[18:19], v13
	s_delay_alu instid0(VALU_DEP_2) | instskip(NEXT) | instid1(VALU_DEP_2)
	v_fmac_f64_e32 v[22:23], v[26:27], v[16:17]
	v_mul_f64_e32 v[26:27], 0x3fe62e42fefa39ef, v[18:19]
	s_delay_alu instid0(VALU_DEP_2) | instskip(NEXT) | instid1(VALU_DEP_1)
	v_add_f64_e32 v[16:17], v[24:25], v[22:23]
	v_add_f64_e64 v[20:21], v[16:17], -v[24:25]
	v_add_f64_e32 v[24:25], v[14:15], v[16:17]
	s_delay_alu instid0(VALU_DEP_2) | instskip(NEXT) | instid1(VALU_DEP_2)
	v_add_f64_e64 v[20:21], v[22:23], -v[20:21]
	v_add_f64_e64 v[14:15], v[24:25], -v[14:15]
	v_fma_f64 v[22:23], v[18:19], s[36:37], -v[26:27]
	s_delay_alu instid0(VALU_DEP_3) | instskip(NEXT) | instid1(VALU_DEP_3)
	v_add_f64_e32 v[4:5], v[4:5], v[20:21]
	v_add_f64_e64 v[14:15], v[16:17], -v[14:15]
	s_delay_alu instid0(VALU_DEP_3) | instskip(NEXT) | instid1(VALU_DEP_2)
	v_fmac_f64_e32 v[22:23], 0x3c7abc9e3b39803f, v[18:19]
	v_add_f64_e32 v[4:5], v[4:5], v[14:15]
	s_delay_alu instid0(VALU_DEP_2) | instskip(NEXT) | instid1(VALU_DEP_2)
	v_add_f64_e32 v[14:15], v[26:27], v[22:23]
	v_add_f64_e32 v[16:17], v[24:25], v[4:5]
	s_delay_alu instid0(VALU_DEP_2) | instskip(NEXT) | instid1(VALU_DEP_2)
	v_add_f64_e64 v[26:27], v[14:15], -v[26:27]
	v_add_f64_e32 v[18:19], v[14:15], v[16:17]
	v_add_f64_e64 v[24:25], v[16:17], -v[24:25]
	s_delay_alu instid0(VALU_DEP_3) | instskip(NEXT) | instid1(VALU_DEP_3)
	v_add_f64_e64 v[22:23], v[22:23], -v[26:27]
	v_add_f64_e64 v[20:21], v[18:19], -v[14:15]
	s_delay_alu instid0(VALU_DEP_3) | instskip(NEXT) | instid1(VALU_DEP_2)
	v_add_f64_e64 v[4:5], v[4:5], -v[24:25]
	v_add_f64_e64 v[28:29], v[18:19], -v[20:21]
	;; [unrolled: 1-line block ×3, first 2 shown]
	s_delay_alu instid0(VALU_DEP_3) | instskip(NEXT) | instid1(VALU_DEP_3)
	v_add_f64_e32 v[20:21], v[22:23], v[4:5]
	v_add_f64_e64 v[14:15], v[14:15], -v[28:29]
	s_delay_alu instid0(VALU_DEP_1) | instskip(NEXT) | instid1(VALU_DEP_3)
	v_add_f64_e32 v[14:15], v[16:17], v[14:15]
	v_add_f64_e64 v[16:17], v[20:21], -v[22:23]
	s_delay_alu instid0(VALU_DEP_2) | instskip(NEXT) | instid1(VALU_DEP_2)
	v_add_f64_e32 v[14:15], v[20:21], v[14:15]
	v_add_f64_e64 v[20:21], v[20:21], -v[16:17]
	v_add_f64_e64 v[4:5], v[4:5], -v[16:17]
	s_delay_alu instid0(VALU_DEP_3) | instskip(NEXT) | instid1(VALU_DEP_3)
	v_add_f64_e32 v[24:25], v[18:19], v[14:15]
	v_add_f64_e64 v[16:17], v[22:23], -v[20:21]
	s_delay_alu instid0(VALU_DEP_2) | instskip(NEXT) | instid1(VALU_DEP_2)
	v_add_f64_e64 v[18:19], v[24:25], -v[18:19]
	v_add_f64_e32 v[4:5], v[4:5], v[16:17]
	s_delay_alu instid0(VALU_DEP_2) | instskip(NEXT) | instid1(VALU_DEP_1)
	v_add_f64_e64 v[14:15], v[14:15], -v[18:19]
	v_add_f64_e32 v[4:5], v[4:5], v[14:15]
	s_delay_alu instid0(VALU_DEP_1) | instskip(NEXT) | instid1(VALU_DEP_1)
	v_add_f64_e32 v[14:15], v[24:25], v[4:5]
	v_add_f64_e64 v[16:17], v[14:15], -v[24:25]
	v_mul_f64_e32 v[18:19], v[10:11], v[14:15]
	s_delay_alu instid0(VALU_DEP_2) | instskip(NEXT) | instid1(VALU_DEP_2)
	v_add_f64_e64 v[4:5], v[4:5], -v[16:17]
	v_fma_f64 v[14:15], v[10:11], v[14:15], -v[18:19]
	v_cmp_class_f64_e64 vcc_lo, v[18:19], 0x204
	s_delay_alu instid0(VALU_DEP_2) | instskip(NEXT) | instid1(VALU_DEP_1)
	v_fmac_f64_e32 v[14:15], v[10:11], v[4:5]
	v_add_f64_e32 v[16:17], v[18:19], v[14:15]
	s_delay_alu instid0(VALU_DEP_1) | instskip(SKIP_3) | instid1(VALU_DEP_4)
	v_dual_cndmask_b32 v21, v17, v19 :: v_dual_cndmask_b32 v20, v16, v18
	v_add_f64_e64 v[16:17], v[16:17], -v[18:19]
	v_mul_f64_e32 v[18:19], 0.5, v[10:11]
	v_cmp_eq_f64_e32 vcc_lo, 0, v[6:7]
	v_mul_f64_e32 v[4:5], 0x3ff71547652b82fe, v[20:21]
	v_cmp_nlt_f64_e64 s0, 0x40900000, v[20:21]
	v_cmp_ngt_f64_e64 s1, 0xc090cc00, v[20:21]
	v_cmp_neq_f64_e64 s3, 0x7ff00000, |v[20:21]|
	v_add_f64_e64 v[14:15], v[14:15], -v[16:17]
	v_trunc_f64_e32 v[16:17], v[10:11]
	s_or_b32 s4, vcc_lo, s4
	s_and_b32 s40, vcc_lo, exec_lo
	v_rndne_f64_e32 v[22:23], v[4:5]
	v_mov_b64_e32 v[4:5], 0x3e928af3fca7ab0c
	s_cselect_b32 s40, 0, 0x7ff00000
	s_and_b32 vcc_lo, s1, s0
	s_delay_alu instid0(VALU_DEP_4) | instskip(NEXT) | instid1(VALU_DEP_3)
	v_dual_cndmask_b32 v15, 0, v15, s3 :: v_dual_cndmask_b32 v14, 0, v14, s3
	v_fmamk_f64 v[24:25], v[22:23], 0xbfe62e42fefa39ef, v[20:21]
	v_cvt_i32_f64_e32 v13, v[22:23]
	v_trunc_f64_e32 v[20:21], v[18:19]
	s_delay_alu instid0(VALU_DEP_3) | instskip(NEXT) | instid1(VALU_DEP_1)
	v_fmac_f64_e32 v[24:25], 0xbc7abc9e3b39803f, v[22:23]
	v_fmamk_f64 v[26:27], v[24:25], 0x3e5ade156a5dcb37, v[4:5]
	s_delay_alu instid0(VALU_DEP_1) | instskip(NEXT) | instid1(VALU_DEP_1)
	v_fmaak_f64 v[26:27], v[24:25], v[26:27], 0x3ec71dee623fde64
	v_fmaak_f64 v[26:27], v[24:25], v[26:27], 0x3efa01997c89e6b0
	s_delay_alu instid0(VALU_DEP_1) | instskip(NEXT) | instid1(VALU_DEP_1)
	v_fmaak_f64 v[26:27], v[24:25], v[26:27], 0x3f2a01a014761f6e
	v_fmaak_f64 v[26:27], v[24:25], v[26:27], 0x3f56c16c1852b7b0
	;; [unrolled: 3-line block ×4, first 2 shown]
	s_delay_alu instid0(VALU_DEP_1) | instskip(NEXT) | instid1(VALU_DEP_1)
	v_fma_f64 v[26:27], v[24:25], v[26:27], 1.0
	v_fma_f64 v[22:23], v[24:25], v[26:27], 1.0
	s_delay_alu instid0(VALU_DEP_1) | instskip(NEXT) | instid1(VALU_DEP_1)
	v_ldexp_f64 v[22:23], v[22:23], v13
	v_cndmask_b32_e64 v6, 0x7ff00000, v23, s0
	s_delay_alu instid0(VALU_DEP_2) | instskip(SKIP_2) | instid1(VALU_DEP_4)
	v_cndmask_b32_e32 v22, 0, v22, vcc_lo
	v_cmp_eq_f64_e32 vcc_lo, v[16:17], v[10:11]
	v_cmp_neq_f64_e64 s0, v[20:21], v[18:19]
	v_cndmask_b32_e64 v23, 0, v6, s1
	s_delay_alu instid0(VALU_DEP_1) | instskip(SKIP_1) | instid1(VALU_DEP_2)
	v_mov_b64_e32 v[24:25], v[22:23]
	v_cmp_class_f64_e64 s1, v[22:23], 0x204
	v_fmac_f64_e32 v[24:25], v[24:25], v[14:15]
	s_and_b32 vcc_lo, vcc_lo, s0
	v_cndmask_b32_e32 v6, 0, v7, vcc_lo
	v_cndmask_b32_e32 v7, 0x3ff00000, v7, vcc_lo
	s_delay_alu instid0(VALU_DEP_2) | instskip(NEXT) | instid1(VALU_DEP_4)
	v_bfi_b32 v13, 0x7fffffff, s40, v6
	v_dual_cndmask_b32 v11, v25, v23, s1 :: v_dual_cndmask_b32 v10, v24, v22, s1
	s_delay_alu instid0(VALU_DEP_1) | instskip(NEXT) | instid1(VALU_DEP_2)
	v_bfi_b32 v7, 0x7fffffff, v11, v7
	v_cndmask_b32_e64 v6, v10, 0, s4
	s_delay_alu instid0(VALU_DEP_2) | instskip(NEXT) | instid1(VALU_DEP_1)
	v_cndmask_b32_e64 v7, v7, v13, s4
	v_add_f64_e64 v[6:7], -v[6:7], 1.0
	s_delay_alu instid0(VALU_DEP_1) | instskip(NEXT) | instid1(VALU_DEP_1)
	v_cvt_f32_f64_e32 v10, v[6:7]
	v_readfirstlane_b32 s0, v10
	s_mul_f32 s1, s0, 0x4f800000
	s_cmp_lt_f32 s0, 0xf800000
	s_delay_alu instid0(SALU_CYCLE_2) | instskip(NEXT) | instid1(SALU_CYCLE_1)
	s_cselect_b32 s43, s1, s0
	v_s_sqrt_f32 s0, s43
	s_mov_b32 s3, s43
	s_delay_alu instid0(TRANS32_DEP_1) | instskip(NEXT) | instid1(SALU_CYCLE_1)
	s_add_co_i32 s1, s0, -1
	s_xor_b32 s4, s1, 0x80000000
	s_delay_alu instid0(SALU_CYCLE_1) | instskip(SKIP_1) | instid1(SALU_CYCLE_2)
	s_fmac_f32 s3, s4, s0
	s_mov_b32 s4, s43
	s_cmp_le_f32 s3, 0
	s_cselect_b32 s1, s1, s0
	s_add_co_i32 s3, s0, 1
	s_delay_alu instid0(SALU_CYCLE_1) | instskip(NEXT) | instid1(SALU_CYCLE_1)
	s_xor_b32 s40, s3, 0x80000000
	s_fmac_f32 s4, s40, s0
	s_delay_alu instid0(SALU_CYCLE_3)
	s_cmp_gt_f32 s4, 0
	s_cselect_b32 s44, s3, s1
	s_bitcmp1_b32 s5, 8
	s_cselect_b32 s40, -1, 0
	s_bitcmp1_b32 s5, 16
	s_cselect_b32 s0, -1, 0
	s_delay_alu instid0(SALU_CYCLE_1)
	s_xor_b32 s41, s0, -1
	s_cmp_neq_f32 s31, 0
	s_cselect_b32 s42, -1, 0
	s_cmp_neq_f32 s29, 1.0
	s_cselect_b32 vcc_lo, -1, 0
	v_cndmask_b32_e32 v7, 0x3ff00000, v3, vcc_lo
	v_cndmask_b32_e32 v6, 0, v2, vcc_lo
	v_cvt_f64_f32_e32 v[2:3], s29
	s_delay_alu instid0(VALU_DEP_2) | instskip(NEXT) | instid1(VALU_DEP_2)
	v_cmp_neq_f64_e32 vcc_lo, 0, v[6:7]
	v_cndmask_b32_e32 v3, 0x3ff00000, v3, vcc_lo
	s_delay_alu instid0(VALU_DEP_3) | instskip(NEXT) | instid1(VALU_DEP_1)
	v_cndmask_b32_e32 v2, 0, v2, vcc_lo
	v_frexp_mant_f64_e64 v[14:15], |v[2:3]|
	v_frexp_exp_i32_f64_e32 v11, v[2:3]
	v_cmp_class_f64_e64 s4, v[2:3], 0x204
	s_delay_alu instid0(VALU_DEP_3) | instskip(SKIP_1) | instid1(VALU_DEP_4)
	v_cmp_gt_f64_e32 vcc_lo, s[38:39], v[14:15]
	v_cndmask_b32_e64 v13, 0, 1, vcc_lo
	v_subrev_co_ci_u32_e64 v11, null, 0, v11, vcc_lo
	s_delay_alu instid0(VALU_DEP_2) | instskip(NEXT) | instid1(VALU_DEP_1)
	v_ldexp_f64 v[14:15], v[14:15], v13
	v_add_f64_e32 v[16:17], 1.0, v[14:15]
	v_add_f64_e32 v[22:23], -1.0, v[14:15]
	s_delay_alu instid0(VALU_DEP_2) | instskip(SKIP_1) | instid1(VALU_DEP_1)
	v_rcp_f64_e32 v[18:19], v[16:17]
	v_add_f64_e32 v[24:25], -1.0, v[16:17]
	v_add_f64_e64 v[14:15], v[14:15], -v[24:25]
	s_delay_alu instid0(TRANS32_DEP_1) | instskip(NEXT) | instid1(VALU_DEP_1)
	v_fma_f64 v[20:21], -v[16:17], v[18:19], 1.0
	v_fmac_f64_e32 v[18:19], v[20:21], v[18:19]
	s_delay_alu instid0(VALU_DEP_1) | instskip(NEXT) | instid1(VALU_DEP_1)
	v_fma_f64 v[20:21], -v[16:17], v[18:19], 1.0
	v_fmac_f64_e32 v[18:19], v[20:21], v[18:19]
	s_delay_alu instid0(VALU_DEP_1) | instskip(NEXT) | instid1(VALU_DEP_1)
	v_mul_f64_e32 v[20:21], v[22:23], v[18:19]
	v_mul_f64_e32 v[26:27], v[16:17], v[20:21]
	s_delay_alu instid0(VALU_DEP_1) | instskip(NEXT) | instid1(VALU_DEP_1)
	v_fma_f64 v[16:17], v[20:21], v[16:17], -v[26:27]
	v_fmac_f64_e32 v[16:17], v[20:21], v[14:15]
	s_delay_alu instid0(VALU_DEP_1) | instskip(NEXT) | instid1(VALU_DEP_1)
	v_add_f64_e32 v[14:15], v[26:27], v[16:17]
	v_add_f64_e64 v[24:25], v[22:23], -v[14:15]
	v_add_f64_e64 v[26:27], v[14:15], -v[26:27]
	s_delay_alu instid0(VALU_DEP_2) | instskip(NEXT) | instid1(VALU_DEP_2)
	v_add_f64_e64 v[22:23], v[22:23], -v[24:25]
	v_add_f64_e64 v[16:17], v[26:27], -v[16:17]
	s_delay_alu instid0(VALU_DEP_2) | instskip(NEXT) | instid1(VALU_DEP_1)
	v_add_f64_e64 v[14:15], v[22:23], -v[14:15]
	v_add_f64_e32 v[14:15], v[16:17], v[14:15]
	s_delay_alu instid0(VALU_DEP_1) | instskip(SKIP_1) | instid1(VALU_DEP_2)
	v_add_f64_e32 v[14:15], v[24:25], v[14:15]
	v_mov_b64_e32 v[24:25], 0x3fbe25e43abe935a
	v_mul_f64_e32 v[14:15], v[18:19], v[14:15]
	s_delay_alu instid0(VALU_DEP_1) | instskip(NEXT) | instid1(VALU_DEP_1)
	v_add_f64_e32 v[16:17], v[20:21], v[14:15]
	v_add_f64_e64 v[18:19], v[16:17], -v[20:21]
	v_mul_f64_e32 v[20:21], v[16:17], v[16:17]
	s_delay_alu instid0(VALU_DEP_2) | instskip(NEXT) | instid1(VALU_DEP_2)
	v_add_f64_e64 v[14:15], v[14:15], -v[18:19]
	v_fma_f64 v[18:19], v[16:17], v[16:17], -v[20:21]
	s_delay_alu instid0(VALU_DEP_2) | instskip(NEXT) | instid1(VALU_DEP_1)
	v_add_f64_e32 v[22:23], v[14:15], v[14:15]
	v_fmac_f64_e32 v[18:19], v[16:17], v[22:23]
	s_delay_alu instid0(VALU_DEP_1) | instskip(NEXT) | instid1(VALU_DEP_1)
	v_add_f64_e32 v[22:23], v[20:21], v[18:19]
	v_fmac_f64_e32 v[8:9], 0x3fbdee674222de17, v[22:23]
	v_mul_f64_e32 v[28:29], v[16:17], v[22:23]
	s_delay_alu instid0(VALU_DEP_2) | instskip(SKIP_1) | instid1(VALU_DEP_3)
	v_fmac_f64_e32 v[24:25], v[22:23], v[8:9]
	v_mov_b64_e32 v[8:9], 0x3fc110ef47e6c9c2
	v_fma_f64 v[30:31], v[22:23], v[16:17], -v[28:29]
	s_delay_alu instid0(VALU_DEP_2) | instskip(SKIP_1) | instid1(VALU_DEP_3)
	v_fmac_f64_e32 v[8:9], v[22:23], v[24:25]
	v_mov_b64_e32 v[24:25], 0x3fc3b13bcfa74449
	v_fmac_f64_e32 v[30:31], v[22:23], v[14:15]
	v_ldexp_f64 v[14:15], v[14:15], 1
	s_delay_alu instid0(VALU_DEP_3) | instskip(SKIP_1) | instid1(VALU_DEP_1)
	v_fmac_f64_e32 v[24:25], v[22:23], v[8:9]
	v_mov_b64_e32 v[8:9], 0x3fc745d171bf3c30
	v_fmac_f64_e32 v[8:9], v[22:23], v[24:25]
	v_mov_b64_e32 v[24:25], 0x3fcc71c71c7792ce
	s_delay_alu instid0(VALU_DEP_1) | instskip(SKIP_1) | instid1(VALU_DEP_1)
	v_fmac_f64_e32 v[24:25], v[22:23], v[8:9]
	v_mov_b64_e32 v[8:9], 0x3fd24924924920da
	v_fmac_f64_e32 v[8:9], v[22:23], v[24:25]
	v_mov_b64_e32 v[24:25], 0x3fd999999999999c
	s_delay_alu instid0(VALU_DEP_1) | instskip(SKIP_1) | instid1(VALU_DEP_2)
	v_fmac_f64_e32 v[24:25], v[22:23], v[8:9]
	v_add_f64_e64 v[8:9], v[22:23], -v[20:21]
	v_mul_f64_e32 v[20:21], v[22:23], v[24:25]
	s_delay_alu instid0(VALU_DEP_2) | instskip(NEXT) | instid1(VALU_DEP_2)
	v_add_f64_e64 v[8:9], v[18:19], -v[8:9]
	v_fma_f64 v[18:19], v[22:23], v[24:25], -v[20:21]
	s_delay_alu instid0(VALU_DEP_2) | instskip(SKIP_1) | instid1(VALU_DEP_3)
	v_fmac_f64_e32 v[30:31], v[8:9], v[16:17]
	v_ldexp_f64 v[16:17], v[16:17], 1
	v_fmac_f64_e32 v[18:19], v[8:9], v[24:25]
	s_delay_alu instid0(VALU_DEP_1) | instskip(NEXT) | instid1(VALU_DEP_1)
	v_add_f64_e32 v[24:25], v[20:21], v[18:19]
	v_add_f64_e64 v[20:21], v[24:25], -v[20:21]
	v_add_f64_e32 v[26:27], 0x3fe5555555555555, v[24:25]
	s_delay_alu instid0(VALU_DEP_2) | instskip(NEXT) | instid1(VALU_DEP_2)
	v_add_f64_e64 v[18:19], v[18:19], -v[20:21]
	v_add_f64_e32 v[20:21], 0xbfe5555555555555, v[26:27]
	s_delay_alu instid0(VALU_DEP_2) | instskip(NEXT) | instid1(VALU_DEP_2)
	v_add_f64_e32 v[18:19], 0x3c8543b0d5df274d, v[18:19]
	v_add_f64_e64 v[20:21], v[24:25], -v[20:21]
	s_delay_alu instid0(VALU_DEP_1) | instskip(SKIP_1) | instid1(VALU_DEP_2)
	v_add_f64_e32 v[18:19], v[18:19], v[20:21]
	v_add_f64_e32 v[20:21], v[28:29], v[30:31]
	;; [unrolled: 1-line block ×3, first 2 shown]
	s_delay_alu instid0(VALU_DEP_1) | instskip(NEXT) | instid1(VALU_DEP_3)
	v_add_f64_e64 v[22:23], v[26:27], -v[8:9]
	v_mul_f64_e32 v[24:25], v[20:21], v[8:9]
	v_add_f64_e64 v[26:27], v[20:21], -v[28:29]
	s_delay_alu instid0(VALU_DEP_3) | instskip(NEXT) | instid1(VALU_DEP_3)
	v_add_f64_e32 v[18:19], v[18:19], v[22:23]
	v_fma_f64 v[22:23], v[20:21], v[8:9], -v[24:25]
	s_delay_alu instid0(VALU_DEP_3) | instskip(NEXT) | instid1(VALU_DEP_2)
	v_add_f64_e64 v[26:27], v[30:31], -v[26:27]
	v_fmac_f64_e32 v[22:23], v[20:21], v[18:19]
	v_cvt_f64_i32_e32 v[18:19], v11
	s_delay_alu instid0(VALU_DEP_2) | instskip(NEXT) | instid1(VALU_DEP_2)
	v_fmac_f64_e32 v[22:23], v[26:27], v[8:9]
	v_mul_f64_e32 v[26:27], 0x3fe62e42fefa39ef, v[18:19]
	s_delay_alu instid0(VALU_DEP_2) | instskip(NEXT) | instid1(VALU_DEP_1)
	v_add_f64_e32 v[8:9], v[24:25], v[22:23]
	v_add_f64_e64 v[20:21], v[8:9], -v[24:25]
	v_add_f64_e32 v[24:25], v[16:17], v[8:9]
	s_delay_alu instid0(VALU_DEP_2) | instskip(NEXT) | instid1(VALU_DEP_2)
	v_add_f64_e64 v[20:21], v[22:23], -v[20:21]
	v_add_f64_e64 v[16:17], v[24:25], -v[16:17]
	v_fma_f64 v[22:23], v[18:19], s[36:37], -v[26:27]
	s_sub_f32 s37, 1.0, s30
	s_mov_b32 s36, s30
	s_delay_alu instid0(VALU_DEP_3) | instskip(NEXT) | instid1(VALU_DEP_3)
	v_add_f64_e32 v[14:15], v[14:15], v[20:21]
	v_add_f64_e64 v[8:9], v[8:9], -v[16:17]
	s_delay_alu instid0(VALU_DEP_3) | instskip(NEXT) | instid1(VALU_DEP_2)
	v_fmac_f64_e32 v[22:23], 0x3c7abc9e3b39803f, v[18:19]
	v_add_f64_e32 v[8:9], v[14:15], v[8:9]
	s_delay_alu instid0(VALU_DEP_2) | instskip(NEXT) | instid1(VALU_DEP_2)
	v_add_f64_e32 v[14:15], v[26:27], v[22:23]
	v_add_f64_e32 v[16:17], v[24:25], v[8:9]
	s_delay_alu instid0(VALU_DEP_2) | instskip(NEXT) | instid1(VALU_DEP_2)
	v_add_f64_e64 v[26:27], v[14:15], -v[26:27]
	v_add_f64_e32 v[18:19], v[14:15], v[16:17]
	v_add_f64_e64 v[24:25], v[16:17], -v[24:25]
	s_delay_alu instid0(VALU_DEP_3) | instskip(NEXT) | instid1(VALU_DEP_3)
	v_add_f64_e64 v[22:23], v[22:23], -v[26:27]
	v_add_f64_e64 v[20:21], v[18:19], -v[14:15]
	s_delay_alu instid0(VALU_DEP_3) | instskip(NEXT) | instid1(VALU_DEP_2)
	v_add_f64_e64 v[8:9], v[8:9], -v[24:25]
	v_add_f64_e64 v[28:29], v[18:19], -v[20:21]
	;; [unrolled: 1-line block ×3, first 2 shown]
	s_delay_alu instid0(VALU_DEP_3) | instskip(NEXT) | instid1(VALU_DEP_3)
	v_add_f64_e32 v[20:21], v[22:23], v[8:9]
	v_add_f64_e64 v[14:15], v[14:15], -v[28:29]
	s_delay_alu instid0(VALU_DEP_1) | instskip(NEXT) | instid1(VALU_DEP_3)
	v_add_f64_e32 v[14:15], v[16:17], v[14:15]
	v_add_f64_e64 v[16:17], v[20:21], -v[22:23]
	s_delay_alu instid0(VALU_DEP_2) | instskip(NEXT) | instid1(VALU_DEP_2)
	v_add_f64_e32 v[14:15], v[20:21], v[14:15]
	v_add_f64_e64 v[20:21], v[20:21], -v[16:17]
	v_add_f64_e64 v[8:9], v[8:9], -v[16:17]
	s_delay_alu instid0(VALU_DEP_3) | instskip(NEXT) | instid1(VALU_DEP_3)
	v_add_f64_e32 v[24:25], v[18:19], v[14:15]
	v_add_f64_e64 v[16:17], v[22:23], -v[20:21]
	s_delay_alu instid0(VALU_DEP_2) | instskip(NEXT) | instid1(VALU_DEP_2)
	v_add_f64_e64 v[18:19], v[24:25], -v[18:19]
	v_add_f64_e32 v[8:9], v[8:9], v[16:17]
	s_delay_alu instid0(VALU_DEP_2) | instskip(NEXT) | instid1(VALU_DEP_1)
	v_add_f64_e64 v[14:15], v[14:15], -v[18:19]
	v_add_f64_e32 v[8:9], v[8:9], v[14:15]
	s_delay_alu instid0(VALU_DEP_1) | instskip(NEXT) | instid1(VALU_DEP_1)
	v_add_f64_e32 v[14:15], v[24:25], v[8:9]
	v_add_f64_e64 v[16:17], v[14:15], -v[24:25]
	v_mul_f64_e32 v[18:19], v[6:7], v[14:15]
	v_mov_b64_e32 v[24:25], 0x3ec71dee623fde64
	s_delay_alu instid0(VALU_DEP_3) | instskip(NEXT) | instid1(VALU_DEP_3)
	v_add_f64_e64 v[8:9], v[8:9], -v[16:17]
	v_fma_f64 v[14:15], v[6:7], v[14:15], -v[18:19]
	v_cmp_class_f64_e64 vcc_lo, v[18:19], 0x204
	s_delay_alu instid0(VALU_DEP_2) | instskip(NEXT) | instid1(VALU_DEP_1)
	v_fmac_f64_e32 v[14:15], v[6:7], v[8:9]
	v_add_f64_e32 v[8:9], v[18:19], v[14:15]
	s_delay_alu instid0(VALU_DEP_1) | instskip(SKIP_3) | instid1(VALU_DEP_4)
	v_dual_cndmask_b32 v17, v9, v19 :: v_dual_cndmask_b32 v16, v8, v18
	v_add_f64_e64 v[8:9], v[8:9], -v[18:19]
	v_mul_f64_e32 v[18:19], 0.5, v[6:7]
	v_cmp_eq_f64_e32 vcc_lo, 0, v[2:3]
	v_mul_f64_e32 v[20:21], 0x3ff71547652b82fe, v[16:17]
	v_cmp_nlt_f64_e64 s0, 0x40900000, v[16:17]
	v_cmp_ngt_f64_e64 s1, 0xc090cc00, v[16:17]
	v_cmp_neq_f64_e64 s3, 0x7ff00000, |v[16:17]|
	v_add_f64_e64 v[8:9], v[14:15], -v[8:9]
	v_trunc_f64_e32 v[14:15], v[6:7]
	s_or_b32 s4, vcc_lo, s4
	s_and_b32 s5, vcc_lo, exec_lo
	v_rndne_f64_e32 v[20:21], v[20:21]
	s_cselect_b32 s5, 0, 0x7ff00000
	s_and_b32 vcc_lo, s1, s0
	s_delay_alu instid0(VALU_DEP_3) | instskip(SKIP_1) | instid1(VALU_DEP_2)
	v_dual_cndmask_b32 v9, 0, v9, s3 :: v_dual_cndmask_b32 v8, 0, v8, s3
	s_sub_f32 s3, 1.0, s29
	v_fmamk_f64 v[22:23], v[20:21], 0xbfe62e42fefa39ef, v[16:17]
	v_cvt_i32_f64_e32 v11, v[20:21]
	v_trunc_f64_e32 v[16:17], v[18:19]
	s_delay_alu instid0(VALU_DEP_3) | instskip(NEXT) | instid1(VALU_DEP_1)
	v_fmac_f64_e32 v[22:23], 0xbc7abc9e3b39803f, v[20:21]
	v_fmac_f64_e32 v[4:5], 0x3e5ade156a5dcb37, v[22:23]
	s_delay_alu instid0(VALU_DEP_1) | instskip(SKIP_1) | instid1(VALU_DEP_1)
	v_fmac_f64_e32 v[24:25], v[22:23], v[4:5]
	v_mov_b64_e32 v[4:5], 0x3efa01997c89e6b0
	v_fmac_f64_e32 v[4:5], v[22:23], v[24:25]
	v_mov_b64_e32 v[24:25], 0x3f2a01a014761f6e
	s_delay_alu instid0(VALU_DEP_1) | instskip(SKIP_1) | instid1(VALU_DEP_1)
	v_fmac_f64_e32 v[24:25], v[22:23], v[4:5]
	v_mov_b64_e32 v[4:5], 0x3f56c16c1852b7b0
	v_fmac_f64_e32 v[4:5], v[22:23], v[24:25]
	v_mov_b64_e32 v[24:25], 0x3f81111111122322
	;; [unrolled: 5-line block ×3, first 2 shown]
	s_delay_alu instid0(VALU_DEP_1) | instskip(SKIP_1) | instid1(VALU_DEP_1)
	v_fmac_f64_e32 v[24:25], v[22:23], v[4:5]
	v_mov_b64_e32 v[4:5], 0x3fe000000000000b
	v_fmac_f64_e32 v[4:5], v[22:23], v[24:25]
	s_delay_alu instid0(VALU_DEP_1) | instskip(NEXT) | instid1(VALU_DEP_1)
	v_fma_f64 v[4:5], v[22:23], v[4:5], 1.0
	v_fma_f64 v[4:5], v[22:23], v[4:5], 1.0
	s_delay_alu instid0(VALU_DEP_1) | instskip(NEXT) | instid1(VALU_DEP_1)
	v_ldexp_f64 v[4:5], v[4:5], v11
	v_cndmask_b32_e64 v2, 0x7ff00000, v5, s0
	s_delay_alu instid0(VALU_DEP_2) | instskip(SKIP_2) | instid1(VALU_DEP_4)
	v_cndmask_b32_e32 v4, 0, v4, vcc_lo
	v_cmp_eq_f64_e32 vcc_lo, v[14:15], v[6:7]
	v_cmp_neq_f64_e64 s0, v[16:17], v[18:19]
	v_cndmask_b32_e64 v5, 0, v2, s1
	s_delay_alu instid0(VALU_DEP_1) | instskip(SKIP_1) | instid1(VALU_DEP_2)
	v_mov_b64_e32 v[20:21], v[4:5]
	v_cmp_class_f64_e64 s1, v[4:5], 0x204
	v_fmac_f64_e32 v[20:21], v[20:21], v[8:9]
	s_and_b32 vcc_lo, vcc_lo, s0
	s_mul_f32 s0, s44, 0x37800000
	v_cndmask_b32_e32 v2, 0, v3, vcc_lo
	v_cndmask_b32_e32 v3, 0x3ff00000, v3, vcc_lo
	s_cmp_lg_u64 s[12:13], 0
	s_cselect_b32 s30, -1, 0
	s_delay_alu instid0(VALU_DEP_2) | instskip(SKIP_1) | instid1(VALU_DEP_4)
	v_bfi_b32 v6, 0x7fffffff, s5, v2
	s_mov_b32 s5, 0
	v_dual_cndmask_b32 v5, v21, v5, s1 :: v_dual_cndmask_b32 v4, v20, v4, s1
	s_mul_f32 s1, s28, s31
	s_delay_alu instid0(VALU_DEP_1) | instskip(NEXT) | instid1(VALU_DEP_2)
	v_bfi_b32 v3, 0x7fffffff, v5, v3
	v_cndmask_b32_e64 v2, v4, 0, s4
	s_delay_alu instid0(VALU_DEP_2) | instskip(SKIP_1) | instid1(SALU_CYCLE_1)
	v_cndmask_b32_e64 v3, v3, v6, s4
	s_mul_i32 s4, s54, s35
	s_lshl_b64 s[38:39], s[4:5], 1
	s_delay_alu instid0(VALU_DEP_1) | instskip(NEXT) | instid1(VALU_DEP_1)
	v_add_f64_e64 v[2:3], -v[2:3], 1.0
	v_cvt_f32_f64_e32 v4, v[2:3]
	s_delay_alu instid0(VALU_DEP_1) | instskip(SKIP_1) | instid1(VALU_DEP_2)
	v_div_scale_f32 v2, null, v4, v4, s28
	v_div_scale_f32 v7, vcc_lo, s28, v4, s28
	v_rcp_f32_e32 v5, v2
	v_xor_b32_e32 v6, 0x80000000, v2
	s_delay_alu instid0(TRANS32_DEP_1) | instid1(VALU_DEP_1)
	v_fma_f32 v2, v6, v5, 1.0
	s_delay_alu instid0(VALU_DEP_1) | instskip(SKIP_1) | instid1(VALU_DEP_2)
	v_fmac_f32_e32 v5, v2, v5
	v_lshlrev_b64_e32 v[2:3], 2, v[0:1]
	v_mul_f32_e32 v8, v7, v5
	s_delay_alu instid0(VALU_DEP_1) | instskip(NEXT) | instid1(VALU_DEP_1)
	v_fma_f32 v9, v6, v8, v7
	v_dual_fmac_f32 v8, v9, v5 :: v_dual_mov_b32 v9, s0
	v_cmp_gt_f32_e64 s0, 0xf800000, v10
	s_delay_alu instid0(VALU_DEP_1) | instskip(SKIP_1) | instid1(VALU_DEP_2)
	v_dual_fmac_f32 v7, v6, v8 :: v_dual_cndmask_b32 v6, s44, v9, s0
	v_cmp_class_f32_e64 s0, s43, 0x260
	v_div_fmas_f32 v5, v7, v5, v8
	s_delay_alu instid0(VALU_DEP_2) | instskip(NEXT) | instid1(VALU_DEP_2)
	v_cndmask_b32_e64 v8, v6, s43, s0
	v_div_fixup_f32 v9, v5, v4, s28
	v_lshl_add_u64 v[4:5], v[0:1], 1, s[12:13]
	s_lshl_b64 s[12:13], s[4:5], 2
	s_mov_b32 s28, s5
	s_branch .LBB1_23
.LBB1_22:                               ;   in Loop: Header=BB1_23 Depth=1
	v_add_nc_u64_e32 v[0:1], s[4:5], v[0:1]
	s_wait_xcnt 0x0
	v_add_nc_u64_e32 v[4:5], s[38:39], v[4:5]
	s_add_nc_u64 s[14:15], s[14:15], s[12:13]
	s_add_nc_u64 s[8:9], s[8:9], s[12:13]
	;; [unrolled: 1-line block ×5, first 2 shown]
	v_cmp_le_u64_e32 vcc_lo, s[6:7], v[0:1]
	s_add_nc_u64 s[26:27], s[26:27], s[12:13]
	s_add_nc_u64 s[10:11], s[10:11], s[12:13]
	;; [unrolled: 1-line block ×4, first 2 shown]
	s_or_b32 s28, vcc_lo, s28
	s_delay_alu instid0(SALU_CYCLE_1)
	s_and_not1_b32 exec_lo, exec_lo, s28
	s_cbranch_execz .LBB1_34
.LBB1_23:                               ; =>This Inner Loop Header: Depth=1
	v_add_nc_u64_e32 v[6:7], s[14:15], v[2:3]
	v_add_nc_u64_e32 v[14:15], s[8:9], v[2:3]
	;; [unrolled: 1-line block ×4, first 2 shown]
	global_load_b32 v7, v[6:7], off
	global_load_b32 v10, v[14:15], off
	;; [unrolled: 1-line block ×4, first 2 shown]
	s_wait_loadcnt 0x3
	v_div_scale_f32 v13, null, v12, v12, v7
	s_wait_xcnt 0x2
	s_delay_alu instid0(VALU_DEP_1) | instskip(SKIP_1) | instid1(TRANS32_DEP_1)
	v_rcp_f32_e32 v14, v13
	v_nop
	v_fma_f32 v15, -v13, v14, 1.0
	s_delay_alu instid0(VALU_DEP_1) | instskip(SKIP_2) | instid1(VALU_DEP_1)
	v_fmac_f32_e32 v14, v15, v14
	v_div_scale_f32 v15, vcc_lo, v7, v12, v7
	s_wait_xcnt 0x1
	v_mul_f32_e32 v16, v15, v14
	s_delay_alu instid0(VALU_DEP_1) | instskip(NEXT) | instid1(VALU_DEP_1)
	v_fma_f32 v17, -v13, v16, v15
	v_fmac_f32_e32 v16, v17, v14
	s_delay_alu instid0(VALU_DEP_1) | instskip(NEXT) | instid1(VALU_DEP_1)
	v_fma_f32 v13, -v13, v16, v15
	v_div_fmas_f32 v13, v13, v14, v16
	s_and_not1_b32 vcc_lo, exec_lo, s42
	s_delay_alu instid0(VALU_DEP_1) | instskip(NEXT) | instid1(VALU_DEP_1)
	v_div_fixup_f32 v13, v13, v12, v7
	v_cndmask_b32_e64 v7, v13, v7, s2
	s_delay_alu instid0(VALU_DEP_1)
	v_cndmask_b32_e64 v13, v7, -v7, s40
	s_cbranch_vccnz .LBB1_29
; %bb.24:                               ;   in Loop: Header=BB1_23 Depth=1
	s_and_b32 vcc_lo, exec_lo, s41
	s_mov_b32 s0, -1
                                        ; implicit-def: $vgpr7
	s_cbranch_vccz .LBB1_26
; %bb.25:                               ;   in Loop: Header=BB1_23 Depth=1
	s_wait_loadcnt 0x2
	v_fma_f32 v7, s31, v10, v13
	s_mov_b32 s0, 0
.LBB1_26:                               ;   in Loop: Header=BB1_23 Depth=1
	s_delay_alu instid0(SALU_CYCLE_1)
	s_and_not1_b32 vcc_lo, exec_lo, s0
	s_cbranch_vccnz .LBB1_28
; %bb.27:                               ;   in Loop: Header=BB1_23 Depth=1
	s_wait_loadcnt 0x2
	v_fma_f32 v10, -s1, v10, v10
	s_branch .LBB1_29
.LBB1_28:                               ;   in Loop: Header=BB1_23 Depth=1
	s_delay_alu instid0(VALU_DEP_1)
	v_mov_b32_e32 v13, v7
.LBB1_29:                               ;   in Loop: Header=BB1_23 Depth=1
	v_mov_b64_e32 v[14:15], s[36:37]
	s_delay_alu instid0(VALU_DEP_2) | instskip(SKIP_2) | instid1(VALU_DEP_1)
	v_mul_f32_e32 v7, v13, v13
	s_and_not1_b32 vcc_lo, exec_lo, s33
	s_wait_loadcnt 0x0
	v_pk_mul_f32 v[6:7], v[14:15], v[6:7]
	s_delay_alu instid0(VALU_DEP_1) | instskip(NEXT) | instid1(VALU_DEP_1)
	v_add_f32_e32 v14, v6, v7
	v_mov_b32_e32 v6, v14
	s_cbranch_vccnz .LBB1_31
; %bb.30:                               ;   in Loop: Header=BB1_23 Depth=1
	v_add_nc_u64_e32 v[6:7], s[24:25], v[2:3]
	v_add_nc_u64_e32 v[16:17], s[26:27], v[2:3]
	global_load_b32 v6, v[6:7], off
	s_wait_xcnt 0x0
	v_max_num_f32_e32 v7, v14, v14
	s_wait_loadcnt 0x0
	v_max_num_f32_e32 v6, v6, v6
	s_delay_alu instid0(VALU_DEP_1)
	v_max_num_f32_e32 v6, v6, v7
	global_store_b32 v[16:17], v6, off
.LBB1_31:                               ;   in Loop: Header=BB1_23 Depth=1
	s_delay_alu instid0(VALU_DEP_1) | instskip(SKIP_3) | instid1(VALU_DEP_3)
	v_mul_f32_e32 v7, 0x4f800000, v6
	v_cmp_gt_f32_e32 vcc_lo, 0xf800000, v6
	v_add_nc_u64_e32 v[20:21], s[22:23], v[2:3]
	s_wait_xcnt 0x0
	v_cndmask_b32_e32 v6, v6, v7, vcc_lo
	s_delay_alu instid0(VALU_DEP_1) | instskip(SKIP_1) | instid1(TRANS32_DEP_1)
	v_sqrt_f32_e32 v7, v6
	v_nop
	v_dual_add_nc_u32 v15, -1, v7 :: v_dual_add_nc_u32 v16, 1, v7
	s_delay_alu instid0(VALU_DEP_1) | instskip(NEXT) | instid1(VALU_DEP_1)
	v_dual_fma_f32 v17, -v15, v7, v6 :: v_dual_fma_f32 v18, -v16, v7, v6
	v_cmp_ge_f32_e64 s0, 0, v17
	s_delay_alu instid0(VALU_DEP_1) | instskip(NEXT) | instid1(VALU_DEP_3)
	v_cndmask_b32_e64 v7, v7, v15, s0
	v_cmp_lt_f32_e64 s0, 0, v18
	s_delay_alu instid0(VALU_DEP_1) | instskip(NEXT) | instid1(VALU_DEP_1)
	v_cndmask_b32_e64 v7, v7, v16, s0
	v_mul_f32_e32 v15, 0x37800000, v7
	s_delay_alu instid0(VALU_DEP_1) | instskip(SKIP_1) | instid1(VALU_DEP_2)
	v_cndmask_b32_e32 v7, v7, v15, vcc_lo
	v_cmp_class_f32_e64 vcc_lo, v6, 0x260
	v_cndmask_b32_e32 v15, v7, v6, vcc_lo
	s_delay_alu instid0(VALU_DEP_1) | instskip(NEXT) | instid1(VALU_DEP_1)
	v_div_scale_f32 v6, null, v8, v8, v15
	v_rcp_f32_e32 v7, v6
	v_nop
	s_delay_alu instid0(TRANS32_DEP_1) | instskip(NEXT) | instid1(VALU_DEP_1)
	v_fma_f32 v16, -v6, v7, 1.0
	v_fmac_f32_e32 v7, v16, v7
	v_div_scale_f32 v17, vcc_lo, v15, v8, v15
	s_delay_alu instid0(VALU_DEP_1) | instskip(NEXT) | instid1(VALU_DEP_1)
	v_mul_f32_e32 v16, v17, v7
	v_fma_f32 v18, -v6, v16, v17
	s_delay_alu instid0(VALU_DEP_1) | instskip(NEXT) | instid1(VALU_DEP_1)
	v_fmac_f32_e32 v16, v18, v7
	v_fma_f32 v6, -v6, v16, v17
	s_delay_alu instid0(VALU_DEP_1) | instskip(SKIP_2) | instid1(VALU_DEP_3)
	v_div_fmas_f32 v17, v6, v7, v16
	v_dual_mul_f32 v6, s29, v11 :: v_dual_mul_f32 v16, s3, v13
	v_mov_b32_e32 v7, s34
	v_div_fixup_f32 v17, v17, v8, v15
	s_delay_alu instid0(VALU_DEP_1) | instskip(NEXT) | instid1(VALU_DEP_1)
	v_pk_add_f32 v[16:17], v[6:7], v[16:17]
	v_mul_f32_e32 v6, v9, v16
	s_delay_alu instid0(VALU_DEP_1) | instskip(SKIP_1) | instid1(VALU_DEP_2)
	v_div_scale_f32 v7, null, v17, v17, v6
	v_div_scale_f32 v15, vcc_lo, v6, v17, v6
	v_rcp_f32_e32 v11, v7
	v_nop
	s_delay_alu instid0(TRANS32_DEP_1) | instskip(NEXT) | instid1(VALU_DEP_1)
	v_fma_f32 v13, -v7, v11, 1.0
	v_fmac_f32_e32 v11, v13, v11
	s_delay_alu instid0(VALU_DEP_1) | instskip(NEXT) | instid1(VALU_DEP_1)
	v_mul_f32_e32 v13, v15, v11
	v_fma_f32 v18, -v7, v13, v15
	s_delay_alu instid0(VALU_DEP_1) | instskip(SKIP_1) | instid1(VALU_DEP_2)
	v_fmac_f32_e32 v13, v18, v11
	v_add_nc_u64_e32 v[18:19], s[18:19], v[2:3]
	v_fma_f32 v7, -v7, v13, v15
	s_delay_alu instid0(VALU_DEP_1) | instskip(SKIP_1) | instid1(VALU_DEP_1)
	v_div_fmas_f32 v7, v7, v11, v13
	s_and_not1_b32 vcc_lo, exec_lo, s30
	v_div_fixup_f32 v11, v7, v17, v6
	v_add_nc_u64_e32 v[6:7], s[10:11], v[2:3]
	s_delay_alu instid0(VALU_DEP_2)
	v_sub_f32_e32 v10, v10, v11
	global_store_b32 v[6:7], v10, off
	global_store_b32 v[18:19], v16, off
	;; [unrolled: 1-line block ×3, first 2 shown]
	s_cbranch_vccnz .LBB1_22
; %bb.32:                               ;   in Loop: Header=BB1_23 Depth=1
	global_load_b32 v6, v[6:7], off
	s_wait_loadcnt 0x0
	v_cvt_f16_f32_e32 v6, v6
	global_store_b16 v[4:5], v6, off
	s_branch .LBB1_22
.LBB1_33:
	s_cbranch_execnz .LBB1_18
.LBB1_34:
	s_endpgm
	.section	.rodata,"a",@progbits
	.p2align	6, 0x0
	.amdhsa_kernel AmpAdamContiguousWithStep
		.amdhsa_group_segment_fixed_size 0
		.amdhsa_private_segment_fixed_size 0
		.amdhsa_kernarg_size 392
		.amdhsa_user_sgpr_count 2
		.amdhsa_user_sgpr_dispatch_ptr 0
		.amdhsa_user_sgpr_queue_ptr 0
		.amdhsa_user_sgpr_kernarg_segment_ptr 1
		.amdhsa_user_sgpr_dispatch_id 0
		.amdhsa_user_sgpr_kernarg_preload_length 0
		.amdhsa_user_sgpr_kernarg_preload_offset 0
		.amdhsa_user_sgpr_private_segment_size 0
		.amdhsa_wavefront_size32 1
		.amdhsa_uses_dynamic_stack 0
		.amdhsa_enable_private_segment 0
		.amdhsa_system_sgpr_workgroup_id_x 1
		.amdhsa_system_sgpr_workgroup_id_y 0
		.amdhsa_system_sgpr_workgroup_id_z 0
		.amdhsa_system_sgpr_workgroup_info 0
		.amdhsa_system_vgpr_workitem_id 0
		.amdhsa_next_free_vgpr 32
		.amdhsa_next_free_sgpr 62
		.amdhsa_named_barrier_count 0
		.amdhsa_reserve_vcc 1
		.amdhsa_float_round_mode_32 0
		.amdhsa_float_round_mode_16_64 0
		.amdhsa_float_denorm_mode_32 3
		.amdhsa_float_denorm_mode_16_64 3
		.amdhsa_fp16_overflow 0
		.amdhsa_memory_ordered 1
		.amdhsa_forward_progress 1
		.amdhsa_inst_pref_size 42
		.amdhsa_round_robin_scheduling 0
		.amdhsa_exception_fp_ieee_invalid_op 0
		.amdhsa_exception_fp_denorm_src 0
		.amdhsa_exception_fp_ieee_div_zero 0
		.amdhsa_exception_fp_ieee_overflow 0
		.amdhsa_exception_fp_ieee_underflow 0
		.amdhsa_exception_fp_ieee_inexact 0
		.amdhsa_exception_int_div_zero 0
	.end_amdhsa_kernel
	.text
.Lfunc_end1:
	.size	AmpAdamContiguousWithStep, .Lfunc_end1-AmpAdamContiguousWithStep
                                        ; -- End function
	.set AmpAdamContiguousWithStep.num_vgpr, 32
	.set AmpAdamContiguousWithStep.num_agpr, 0
	.set AmpAdamContiguousWithStep.numbered_sgpr, 62
	.set AmpAdamContiguousWithStep.num_named_barrier, 0
	.set AmpAdamContiguousWithStep.private_seg_size, 0
	.set AmpAdamContiguousWithStep.uses_vcc, 1
	.set AmpAdamContiguousWithStep.uses_flat_scratch, 0
	.set AmpAdamContiguousWithStep.has_dyn_sized_stack, 0
	.set AmpAdamContiguousWithStep.has_recursion, 0
	.set AmpAdamContiguousWithStep.has_indirect_call, 0
	.section	.AMDGPU.csdata,"",@progbits
; Kernel info:
; codeLenInByte = 5256
; TotalNumSgprs: 64
; NumVgprs: 32
; ScratchSize: 0
; MemoryBound: 0
; FloatMode: 240
; IeeeMode: 1
; LDSByteSize: 0 bytes/workgroup (compile time only)
; SGPRBlocks: 0
; VGPRBlocks: 1
; NumSGPRsForWavesPerEU: 64
; NumVGPRsForWavesPerEU: 32
; NamedBarCnt: 0
; Occupancy: 16
; WaveLimiterHint : 0
; COMPUTE_PGM_RSRC2:SCRATCH_EN: 0
; COMPUTE_PGM_RSRC2:USER_SGPR: 2
; COMPUTE_PGM_RSRC2:TRAP_HANDLER: 0
; COMPUTE_PGM_RSRC2:TGID_X_EN: 1
; COMPUTE_PGM_RSRC2:TGID_Y_EN: 0
; COMPUTE_PGM_RSRC2:TGID_Z_EN: 0
; COMPUTE_PGM_RSRC2:TIDIG_COMP_CNT: 0
	.text
	.protected	AmpAdamContiguous       ; -- Begin function AmpAdamContiguous
	.globl	AmpAdamContiguous
	.p2align	8
	.type	AmpAdamContiguous,@function
AmpAdamContiguous:                      ; @AmpAdamContiguous
; %bb.0:
	s_clause 0x1
	s_load_b32 s2, s[0:1], 0x94
	s_load_b64 s[34:35], s[0:1], 0x80
	s_bfe_u32 s3, ttmp6, 0x4000c
	s_and_b32 s4, ttmp6, 15
	s_add_co_i32 s3, s3, 1
	s_getreg_b32 s5, hwreg(HW_REG_IB_STS2, 6, 4)
	s_mul_i32 s3, ttmp9, s3
	v_mov_b32_e32 v3, 0
	s_add_co_i32 s4, s4, s3
	s_cmp_eq_u32 s5, 0
	s_cselect_b32 s55, ttmp9, s4
	s_wait_kmcnt 0x0
	s_and_b32 s2, s2, 0xffff
	s_delay_alu instid0(SALU_CYCLE_1) | instskip(SKIP_1) | instid1(VALU_DEP_1)
	v_mad_u32 v2, s55, s2, v0
	s_mov_b32 s2, exec_lo
	v_cmpx_gt_u64_e64 s[34:35], v[2:3]
	s_cbranch_execz .LBB2_34
; %bb.1:
	s_clause 0x1
	s_load_b96 s[36:38], s[0:1], 0x70
	s_load_b256 s[24:31], s[0:1], 0x40
	s_add_nc_u64 s[2:3], s[0:1], 0x88
	s_load_b512 s[8:23], s[0:1], 0x0
	s_load_b32 s54, s[2:3], 0x0
	s_wait_kmcnt 0x0
	s_bitcmp1_b32 s38, 0
	s_cselect_b32 s33, -1, 0
	s_cmp_eq_u64 s[30:31], 0
	s_cselect_b32 s4, -1, 0
	s_delay_alu instid0(SALU_CYCLE_1)
	s_and_b32 vcc_lo, exec_lo, s4
	s_cbranch_vccnz .LBB2_17
; %bb.2:
	s_load_u8 s4, s[30:31], 0x0
	s_mov_b32 s5, 0
	s_wait_kmcnt 0x0
	s_cmp_lg_u32 s4, 0
	s_cbranch_scc0 .LBB2_33
; %bb.3:
	s_cmp_lt_u32 s55, s54
	v_mov_b32_e32 v3, 0
	s_cselect_b32 s4, 12, 18
	s_mov_b32 s56, exec_lo
	s_add_nc_u64 s[4:5], s[2:3], s[4:5]
	s_load_u16 s4, s[4:5], 0x0
	s_wait_kmcnt 0x0
	v_mad_u32 v2, s55, s4, v0
	s_delay_alu instid0(VALU_DEP_1)
	v_cmpx_gt_u64_e64 s[34:35], v[2:3]
	s_cbranch_execz .LBB2_16
; %bb.4:
	s_cmp_lg_u64 s[8:9], s[10:11]
	v_lshlrev_b64_e32 v[4:5], 2, v[2:3]
	s_cselect_b32 s57, -1, 0
	s_cmp_lg_u64 s[12:13], 0
	v_lshl_add_u64 v[6:7], v[2:3], 1, s[12:13]
	s_cselect_b32 s58, -1, 0
	s_cmp_lg_u64 s[16:17], s[18:19]
	s_mul_i32 s4, s54, s4
	s_cselect_b32 s59, -1, 0
	s_cmp_lg_u64 s[20:21], s[22:23]
	s_mov_b32 s5, 0
	s_cselect_b32 s60, -1, 0
	s_cmp_lg_u64 s[24:25], s[26:27]
	s_mov_b32 s62, s5
	s_cselect_b32 s38, -1, 0
	s_lshl_b64 s[6:7], s[4:5], 2
	s_lshl_b64 s[30:31], s[4:5], 1
	s_and_b32 s61, s38, s33
	s_mov_b64 s[38:39], s[26:27]
	s_mov_b64 s[40:41], s[24:25]
	;; [unrolled: 1-line block ×8, first 2 shown]
	s_branch .LBB2_6
.LBB2_5:                                ;   in Loop: Header=BB2_6 Depth=1
	v_add_nc_u64_e32 v[2:3], s[4:5], v[2:3]
	s_wait_xcnt 0x0
	v_add_nc_u64_e32 v[6:7], s[30:31], v[6:7]
	s_add_nc_u64 s[52:53], s[52:53], s[6:7]
	s_add_nc_u64 s[50:51], s[50:51], s[6:7]
	;; [unrolled: 1-line block ×5, first 2 shown]
	v_cmp_le_u64_e32 vcc_lo, s[34:35], v[2:3]
	s_add_nc_u64 s[42:43], s[42:43], s[6:7]
	s_add_nc_u64 s[40:41], s[40:41], s[6:7]
	;; [unrolled: 1-line block ×3, first 2 shown]
	s_or_b32 s62, vcc_lo, s62
	s_delay_alu instid0(SALU_CYCLE_1)
	s_and_not1_b32 exec_lo, exec_lo, s62
	s_cbranch_execz .LBB2_16
.LBB2_6:                                ; =>This Inner Loop Header: Depth=1
	v_add_nc_u64_e32 v[8:9], s[52:53], v[4:5]
	s_and_not1_b32 vcc_lo, exec_lo, s57
	s_cbranch_vccnz .LBB2_8
; %bb.7:                                ;   in Loop: Header=BB2_6 Depth=1
	global_load_b32 v1, v[8:9], off
	v_add_nc_u64_e32 v[10:11], s[50:51], v[4:5]
	s_wait_loadcnt 0x0
	global_store_b32 v[10:11], v1, off
.LBB2_8:                                ;   in Loop: Header=BB2_6 Depth=1
	s_and_not1_b32 vcc_lo, exec_lo, s58
	s_cbranch_vccnz .LBB2_10
; %bb.9:                                ;   in Loop: Header=BB2_6 Depth=1
	global_load_b32 v1, v[8:9], off
	s_wait_loadcnt 0x0
	v_cvt_f16_f32_e32 v1, v1
	global_store_b16 v[6:7], v1, off
.LBB2_10:                               ;   in Loop: Header=BB2_6 Depth=1
	s_and_not1_b32 vcc_lo, exec_lo, s59
	s_cbranch_vccnz .LBB2_12
; %bb.11:                               ;   in Loop: Header=BB2_6 Depth=1
	s_wait_xcnt 0x1
	v_add_nc_u64_e32 v[8:9], s[48:49], v[4:5]
	global_load_b32 v1, v[8:9], off
	s_wait_xcnt 0x0
	v_add_nc_u64_e32 v[8:9], s[46:47], v[4:5]
	s_wait_loadcnt 0x0
	global_store_b32 v[8:9], v1, off
.LBB2_12:                               ;   in Loop: Header=BB2_6 Depth=1
	s_and_not1_b32 vcc_lo, exec_lo, s60
	s_cbranch_vccnz .LBB2_14
; %bb.13:                               ;   in Loop: Header=BB2_6 Depth=1
	s_wait_xcnt 0x0
	v_add_nc_u64_e32 v[8:9], s[44:45], v[4:5]
	global_load_b32 v1, v[8:9], off
	s_wait_xcnt 0x0
	v_add_nc_u64_e32 v[8:9], s[42:43], v[4:5]
	s_wait_loadcnt 0x0
	global_store_b32 v[8:9], v1, off
.LBB2_14:                               ;   in Loop: Header=BB2_6 Depth=1
	s_and_not1_b32 vcc_lo, exec_lo, s61
	s_cbranch_vccnz .LBB2_5
; %bb.15:                               ;   in Loop: Header=BB2_6 Depth=1
	s_wait_xcnt 0x0
	v_add_nc_u64_e32 v[8:9], s[40:41], v[4:5]
	global_load_b32 v1, v[8:9], off
	s_wait_xcnt 0x0
	v_add_nc_u64_e32 v[8:9], s[38:39], v[4:5]
	s_wait_loadcnt 0x0
	global_store_b32 v[8:9], v1, off
	s_branch .LBB2_5
.LBB2_16:
	s_or_b32 exec_lo, exec_lo, s56
	s_mov_b32 s4, 0
.LBB2_17:
	s_delay_alu instid0(SALU_CYCLE_1)
	s_and_b32 vcc_lo, exec_lo, s4
	s_cbranch_vccz .LBB2_34
.LBB2_18:
	s_cmp_lt_u32 s55, s54
	v_dual_mov_b32 v1, 0 :: v_dual_mov_b32 v12, 1.0
	s_mov_b32 s5, 0
	s_cselect_b32 s4, 12, 18
	s_cmp_eq_u64 s[28:29], 0
	s_add_nc_u64 s[2:3], s[2:3], s[4:5]
	global_load_u16 v2, v1, s[2:3]
	s_wait_xcnt 0x0
	s_cselect_b32 s2, -1, 0
	s_delay_alu instid0(SALU_CYCLE_1)
	s_and_b32 vcc_lo, exec_lo, s2
	s_wait_loadcnt 0x0
	v_readfirstlane_b32 s3, v2
	s_cbranch_vccnz .LBB2_20
; %bb.19:
	global_load_b32 v2, v1, s[28:29]
	s_wait_loadcnt 0x0
	v_cvt_f32_i32_e32 v12, v2
.LBB2_20:
	s_and_b32 s38, 0xffff, s3
	s_delay_alu instid0(SALU_CYCLE_1) | instskip(NEXT) | instid1(VALU_DEP_1)
	v_mad_u32 v0, s55, s38, v0
	v_cmp_gt_u64_e32 vcc_lo, s[34:35], v[0:1]
	s_wait_xcnt 0x0
	s_and_b32 exec_lo, exec_lo, vcc_lo
	s_cbranch_execz .LBB2_34
; %bb.21:
	s_clause 0x1
	s_load_b128 s[4:7], s[0:1], 0x60
	s_load_b32 s40, s[0:1], 0x78
	s_mov_b64 s[30:31], 0x3fe5555555555555
	s_mov_b64 s[28:29], 0x3fe62e42fefa39ef
	s_wait_kmcnt 0x0
	v_cvt_f64_u32_e32 v[4:5], s4
	s_cmp_neq_f32 s7, 1.0
	v_cvt_f64_f32_e32 v[2:3], s7
	s_cselect_b32 vcc_lo, -1, 0
	s_delay_alu instid0(VALU_DEP_2) | instskip(NEXT) | instid1(VALU_DEP_3)
	v_cndmask_b32_e32 v11, 0x3ff00000, v5, vcc_lo
	v_cndmask_b32_e32 v10, 0, v4, vcc_lo
	s_delay_alu instid0(VALU_DEP_1) | instskip(NEXT) | instid1(VALU_DEP_4)
	v_cmp_neq_f64_e32 vcc_lo, 0, v[10:11]
	v_cndmask_b32_e32 v7, 0x3ff00000, v3, vcc_lo
	v_cndmask_b32_e32 v6, 0, v2, vcc_lo
	s_delay_alu instid0(VALU_DEP_1) | instskip(SKIP_2) | instid1(VALU_DEP_3)
	v_frexp_mant_f64_e64 v[2:3], |v[6:7]|
	v_frexp_exp_i32_f64_e32 v8, v[6:7]
	v_cmp_class_f64_e64 s4, v[6:7], 0x204
	v_cmp_gt_f64_e32 vcc_lo, s[30:31], v[2:3]
	s_delay_alu instid0(VALU_DEP_3) | instskip(SKIP_1) | instid1(VALU_DEP_1)
	v_subrev_co_ci_u32_e64 v13, null, 0, v8, vcc_lo
	v_cndmask_b32_e64 v8, 0, 1, vcc_lo
	v_ldexp_f64 v[2:3], v[2:3], v8
	s_delay_alu instid0(VALU_DEP_1) | instskip(SKIP_1) | instid1(VALU_DEP_2)
	v_add_f64_e32 v[8:9], 1.0, v[2:3]
	v_add_f64_e32 v[18:19], -1.0, v[2:3]
	v_rcp_f64_e32 v[14:15], v[8:9]
	v_add_f64_e32 v[20:21], -1.0, v[8:9]
	s_delay_alu instid0(VALU_DEP_1) | instskip(NEXT) | instid1(TRANS32_DEP_1)
	v_add_f64_e64 v[2:3], v[2:3], -v[20:21]
	v_fma_f64 v[16:17], -v[8:9], v[14:15], 1.0
	s_delay_alu instid0(VALU_DEP_1) | instskip(NEXT) | instid1(VALU_DEP_1)
	v_fmac_f64_e32 v[14:15], v[16:17], v[14:15]
	v_fma_f64 v[16:17], -v[8:9], v[14:15], 1.0
	s_delay_alu instid0(VALU_DEP_1) | instskip(NEXT) | instid1(VALU_DEP_1)
	v_fmac_f64_e32 v[14:15], v[16:17], v[14:15]
	v_mul_f64_e32 v[16:17], v[18:19], v[14:15]
	s_delay_alu instid0(VALU_DEP_1) | instskip(NEXT) | instid1(VALU_DEP_1)
	v_mul_f64_e32 v[22:23], v[8:9], v[16:17]
	v_fma_f64 v[8:9], v[16:17], v[8:9], -v[22:23]
	s_delay_alu instid0(VALU_DEP_1) | instskip(NEXT) | instid1(VALU_DEP_1)
	v_fmac_f64_e32 v[8:9], v[16:17], v[2:3]
	v_add_f64_e32 v[2:3], v[22:23], v[8:9]
	s_delay_alu instid0(VALU_DEP_1) | instskip(SKIP_1) | instid1(VALU_DEP_2)
	v_add_f64_e64 v[20:21], v[18:19], -v[2:3]
	v_add_f64_e64 v[22:23], v[2:3], -v[22:23]
	;; [unrolled: 1-line block ×3, first 2 shown]
	s_delay_alu instid0(VALU_DEP_2) | instskip(NEXT) | instid1(VALU_DEP_2)
	v_add_f64_e64 v[8:9], v[22:23], -v[8:9]
	v_add_f64_e64 v[2:3], v[18:19], -v[2:3]
	s_delay_alu instid0(VALU_DEP_1) | instskip(NEXT) | instid1(VALU_DEP_1)
	v_add_f64_e32 v[2:3], v[8:9], v[2:3]
	v_add_f64_e32 v[2:3], v[20:21], v[2:3]
	s_delay_alu instid0(VALU_DEP_1) | instskip(NEXT) | instid1(VALU_DEP_1)
	v_mul_f64_e32 v[2:3], v[14:15], v[2:3]
	v_add_f64_e32 v[14:15], v[16:17], v[2:3]
	s_delay_alu instid0(VALU_DEP_1) | instskip(SKIP_1) | instid1(VALU_DEP_2)
	v_add_f64_e64 v[8:9], v[14:15], -v[16:17]
	v_mul_f64_e32 v[16:17], v[14:15], v[14:15]
	v_add_f64_e64 v[2:3], v[2:3], -v[8:9]
	s_delay_alu instid0(VALU_DEP_2) | instskip(NEXT) | instid1(VALU_DEP_2)
	v_fma_f64 v[18:19], v[14:15], v[14:15], -v[16:17]
	v_add_f64_e32 v[8:9], v[2:3], v[2:3]
	s_delay_alu instid0(VALU_DEP_1) | instskip(SKIP_1) | instid1(VALU_DEP_2)
	v_fmac_f64_e32 v[18:19], v[14:15], v[8:9]
	v_mov_b64_e32 v[8:9], 0x3fba6564968915a9
	v_add_f64_e32 v[20:21], v[16:17], v[18:19]
	s_delay_alu instid0(VALU_DEP_1) | instskip(SKIP_2) | instid1(VALU_DEP_3)
	v_fmamk_f64 v[22:23], v[20:21], 0x3fbdee674222de17, v[8:9]
	v_add_f64_e64 v[16:17], v[20:21], -v[16:17]
	v_mul_f64_e32 v[28:29], v[14:15], v[20:21]
	v_fmaak_f64 v[22:23], v[20:21], v[22:23], 0x3fbe25e43abe935a
	s_delay_alu instid0(VALU_DEP_1) | instskip(NEXT) | instid1(VALU_DEP_1)
	v_fmaak_f64 v[22:23], v[20:21], v[22:23], 0x3fc110ef47e6c9c2
	v_fmaak_f64 v[22:23], v[20:21], v[22:23], 0x3fc3b13bcfa74449
	s_delay_alu instid0(VALU_DEP_1) | instskip(SKIP_2) | instid1(VALU_DEP_3)
	v_fmaak_f64 v[22:23], v[20:21], v[22:23], 0x3fc745d171bf3c30
	v_add_f64_e64 v[16:17], v[18:19], -v[16:17]
	v_fma_f64 v[30:31], v[20:21], v[14:15], -v[28:29]
	v_fmaak_f64 v[22:23], v[20:21], v[22:23], 0x3fcc71c71c7792ce
	s_delay_alu instid0(VALU_DEP_1) | instskip(NEXT) | instid1(VALU_DEP_1)
	v_fmaak_f64 v[22:23], v[20:21], v[22:23], 0x3fd24924924920da
	v_fmaak_f64 v[22:23], v[20:21], v[22:23], 0x3fd999999999999c
	s_delay_alu instid0(VALU_DEP_1) | instskip(SKIP_2) | instid1(VALU_DEP_3)
	v_mul_f64_e32 v[24:25], v[20:21], v[22:23]
	v_fmac_f64_e32 v[30:31], v[20:21], v[2:3]
	v_ldexp_f64 v[2:3], v[2:3], 1
	v_fma_f64 v[18:19], v[20:21], v[22:23], -v[24:25]
	s_delay_alu instid0(VALU_DEP_3) | instskip(SKIP_1) | instid1(VALU_DEP_3)
	v_fmac_f64_e32 v[30:31], v[16:17], v[14:15]
	v_ldexp_f64 v[14:15], v[14:15], 1
	v_fmac_f64_e32 v[18:19], v[16:17], v[22:23]
	s_delay_alu instid0(VALU_DEP_3) | instskip(NEXT) | instid1(VALU_DEP_2)
	v_add_f64_e32 v[20:21], v[28:29], v[30:31]
	v_add_f64_e32 v[22:23], v[24:25], v[18:19]
	s_delay_alu instid0(VALU_DEP_1) | instskip(SKIP_1) | instid1(VALU_DEP_2)
	v_add_f64_e64 v[24:25], v[22:23], -v[24:25]
	v_add_f64_e32 v[26:27], 0x3fe5555555555555, v[22:23]
	v_add_f64_e64 v[18:19], v[18:19], -v[24:25]
	s_delay_alu instid0(VALU_DEP_2) | instskip(NEXT) | instid1(VALU_DEP_2)
	v_add_f64_e32 v[24:25], 0xbfe5555555555555, v[26:27]
	v_add_f64_e32 v[18:19], 0x3c8543b0d5df274d, v[18:19]
	s_delay_alu instid0(VALU_DEP_2) | instskip(NEXT) | instid1(VALU_DEP_1)
	v_add_f64_e64 v[22:23], v[22:23], -v[24:25]
	v_add_f64_e32 v[18:19], v[18:19], v[22:23]
	s_delay_alu instid0(VALU_DEP_1) | instskip(NEXT) | instid1(VALU_DEP_1)
	v_add_f64_e32 v[16:17], v[26:27], v[18:19]
	v_add_f64_e64 v[22:23], v[26:27], -v[16:17]
	v_mul_f64_e32 v[24:25], v[20:21], v[16:17]
	v_add_f64_e64 v[26:27], v[20:21], -v[28:29]
	s_delay_alu instid0(VALU_DEP_3) | instskip(NEXT) | instid1(VALU_DEP_3)
	v_add_f64_e32 v[18:19], v[18:19], v[22:23]
	v_fma_f64 v[22:23], v[20:21], v[16:17], -v[24:25]
	s_delay_alu instid0(VALU_DEP_3) | instskip(NEXT) | instid1(VALU_DEP_2)
	v_add_f64_e64 v[26:27], v[30:31], -v[26:27]
	v_fmac_f64_e32 v[22:23], v[20:21], v[18:19]
	v_cvt_f64_i32_e32 v[18:19], v13
	s_delay_alu instid0(VALU_DEP_2) | instskip(NEXT) | instid1(VALU_DEP_2)
	v_fmac_f64_e32 v[22:23], v[26:27], v[16:17]
	v_mul_f64_e32 v[26:27], 0x3fe62e42fefa39ef, v[18:19]
	s_delay_alu instid0(VALU_DEP_2) | instskip(NEXT) | instid1(VALU_DEP_1)
	v_add_f64_e32 v[16:17], v[24:25], v[22:23]
	v_add_f64_e64 v[20:21], v[16:17], -v[24:25]
	v_add_f64_e32 v[24:25], v[14:15], v[16:17]
	s_delay_alu instid0(VALU_DEP_2) | instskip(NEXT) | instid1(VALU_DEP_2)
	v_add_f64_e64 v[20:21], v[22:23], -v[20:21]
	v_add_f64_e64 v[14:15], v[24:25], -v[14:15]
	v_fma_f64 v[22:23], v[18:19], s[28:29], -v[26:27]
	s_delay_alu instid0(VALU_DEP_3) | instskip(NEXT) | instid1(VALU_DEP_3)
	v_add_f64_e32 v[2:3], v[2:3], v[20:21]
	v_add_f64_e64 v[14:15], v[16:17], -v[14:15]
	s_delay_alu instid0(VALU_DEP_3) | instskip(NEXT) | instid1(VALU_DEP_2)
	v_fmac_f64_e32 v[22:23], 0x3c7abc9e3b39803f, v[18:19]
	v_add_f64_e32 v[2:3], v[2:3], v[14:15]
	s_delay_alu instid0(VALU_DEP_2) | instskip(NEXT) | instid1(VALU_DEP_2)
	v_add_f64_e32 v[14:15], v[26:27], v[22:23]
	v_add_f64_e32 v[16:17], v[24:25], v[2:3]
	s_delay_alu instid0(VALU_DEP_2) | instskip(NEXT) | instid1(VALU_DEP_2)
	v_add_f64_e64 v[26:27], v[14:15], -v[26:27]
	v_add_f64_e32 v[18:19], v[14:15], v[16:17]
	v_add_f64_e64 v[24:25], v[16:17], -v[24:25]
	s_delay_alu instid0(VALU_DEP_3) | instskip(NEXT) | instid1(VALU_DEP_3)
	v_add_f64_e64 v[22:23], v[22:23], -v[26:27]
	v_add_f64_e64 v[20:21], v[18:19], -v[14:15]
	s_delay_alu instid0(VALU_DEP_3) | instskip(NEXT) | instid1(VALU_DEP_2)
	v_add_f64_e64 v[2:3], v[2:3], -v[24:25]
	v_add_f64_e64 v[28:29], v[18:19], -v[20:21]
	;; [unrolled: 1-line block ×3, first 2 shown]
	s_delay_alu instid0(VALU_DEP_3) | instskip(NEXT) | instid1(VALU_DEP_3)
	v_add_f64_e32 v[20:21], v[22:23], v[2:3]
	v_add_f64_e64 v[14:15], v[14:15], -v[28:29]
	s_delay_alu instid0(VALU_DEP_1) | instskip(NEXT) | instid1(VALU_DEP_3)
	v_add_f64_e32 v[14:15], v[16:17], v[14:15]
	v_add_f64_e64 v[16:17], v[20:21], -v[22:23]
	s_delay_alu instid0(VALU_DEP_2) | instskip(NEXT) | instid1(VALU_DEP_2)
	v_add_f64_e32 v[14:15], v[20:21], v[14:15]
	v_add_f64_e64 v[20:21], v[20:21], -v[16:17]
	v_add_f64_e64 v[2:3], v[2:3], -v[16:17]
	s_delay_alu instid0(VALU_DEP_3) | instskip(NEXT) | instid1(VALU_DEP_3)
	v_add_f64_e32 v[24:25], v[18:19], v[14:15]
	v_add_f64_e64 v[16:17], v[22:23], -v[20:21]
	s_delay_alu instid0(VALU_DEP_2) | instskip(NEXT) | instid1(VALU_DEP_2)
	v_add_f64_e64 v[18:19], v[24:25], -v[18:19]
	v_add_f64_e32 v[2:3], v[2:3], v[16:17]
	s_delay_alu instid0(VALU_DEP_2) | instskip(NEXT) | instid1(VALU_DEP_1)
	v_add_f64_e64 v[14:15], v[14:15], -v[18:19]
	v_add_f64_e32 v[2:3], v[2:3], v[14:15]
	s_delay_alu instid0(VALU_DEP_1) | instskip(NEXT) | instid1(VALU_DEP_1)
	v_add_f64_e32 v[14:15], v[24:25], v[2:3]
	v_add_f64_e64 v[16:17], v[14:15], -v[24:25]
	v_mul_f64_e32 v[18:19], v[10:11], v[14:15]
	s_delay_alu instid0(VALU_DEP_2) | instskip(NEXT) | instid1(VALU_DEP_2)
	v_add_f64_e64 v[2:3], v[2:3], -v[16:17]
	v_fma_f64 v[14:15], v[10:11], v[14:15], -v[18:19]
	v_cmp_class_f64_e64 vcc_lo, v[18:19], 0x204
	s_delay_alu instid0(VALU_DEP_2) | instskip(NEXT) | instid1(VALU_DEP_1)
	v_fmac_f64_e32 v[14:15], v[10:11], v[2:3]
	v_add_f64_e32 v[16:17], v[18:19], v[14:15]
	s_delay_alu instid0(VALU_DEP_1) | instskip(SKIP_3) | instid1(VALU_DEP_4)
	v_dual_cndmask_b32 v21, v17, v19 :: v_dual_cndmask_b32 v20, v16, v18
	v_add_f64_e64 v[16:17], v[16:17], -v[18:19]
	v_mul_f64_e32 v[18:19], 0.5, v[10:11]
	v_cmp_eq_f64_e32 vcc_lo, 0, v[6:7]
	v_mul_f64_e32 v[2:3], 0x3ff71547652b82fe, v[20:21]
	v_cmp_nlt_f64_e64 s0, 0x40900000, v[20:21]
	v_cmp_ngt_f64_e64 s1, 0xc090cc00, v[20:21]
	v_cmp_neq_f64_e64 s3, 0x7ff00000, |v[20:21]|
	v_add_f64_e64 v[14:15], v[14:15], -v[16:17]
	v_trunc_f64_e32 v[16:17], v[10:11]
	s_or_b32 s4, vcc_lo, s4
	s_and_b32 s39, vcc_lo, exec_lo
	v_rndne_f64_e32 v[22:23], v[2:3]
	v_mov_b64_e32 v[2:3], 0x3e928af3fca7ab0c
	s_cselect_b32 s39, 0, 0x7ff00000
	s_and_b32 vcc_lo, s1, s0
	s_delay_alu instid0(VALU_DEP_4) | instskip(NEXT) | instid1(VALU_DEP_3)
	v_dual_cndmask_b32 v15, 0, v15, s3 :: v_dual_cndmask_b32 v14, 0, v14, s3
	v_fmamk_f64 v[24:25], v[22:23], 0xbfe62e42fefa39ef, v[20:21]
	v_cvt_i32_f64_e32 v13, v[22:23]
	v_trunc_f64_e32 v[20:21], v[18:19]
	s_delay_alu instid0(VALU_DEP_3) | instskip(NEXT) | instid1(VALU_DEP_1)
	v_fmac_f64_e32 v[24:25], 0xbc7abc9e3b39803f, v[22:23]
	v_fmamk_f64 v[26:27], v[24:25], 0x3e5ade156a5dcb37, v[2:3]
	s_delay_alu instid0(VALU_DEP_1) | instskip(NEXT) | instid1(VALU_DEP_1)
	v_fmaak_f64 v[26:27], v[24:25], v[26:27], 0x3ec71dee623fde64
	v_fmaak_f64 v[26:27], v[24:25], v[26:27], 0x3efa01997c89e6b0
	s_delay_alu instid0(VALU_DEP_1) | instskip(NEXT) | instid1(VALU_DEP_1)
	v_fmaak_f64 v[26:27], v[24:25], v[26:27], 0x3f2a01a014761f6e
	v_fmaak_f64 v[26:27], v[24:25], v[26:27], 0x3f56c16c1852b7b0
	;; [unrolled: 3-line block ×4, first 2 shown]
	s_delay_alu instid0(VALU_DEP_1) | instskip(NEXT) | instid1(VALU_DEP_1)
	v_fma_f64 v[26:27], v[24:25], v[26:27], 1.0
	v_fma_f64 v[22:23], v[24:25], v[26:27], 1.0
	s_delay_alu instid0(VALU_DEP_1) | instskip(NEXT) | instid1(VALU_DEP_1)
	v_ldexp_f64 v[22:23], v[22:23], v13
	v_cndmask_b32_e64 v6, 0x7ff00000, v23, s0
	s_delay_alu instid0(VALU_DEP_2) | instskip(SKIP_2) | instid1(VALU_DEP_4)
	v_cndmask_b32_e32 v22, 0, v22, vcc_lo
	v_cmp_eq_f64_e32 vcc_lo, v[16:17], v[10:11]
	v_cmp_neq_f64_e64 s0, v[20:21], v[18:19]
	v_cndmask_b32_e64 v23, 0, v6, s1
	s_delay_alu instid0(VALU_DEP_1) | instskip(SKIP_1) | instid1(VALU_DEP_2)
	v_mov_b64_e32 v[24:25], v[22:23]
	v_cmp_class_f64_e64 s1, v[22:23], 0x204
	v_fmac_f64_e32 v[24:25], v[24:25], v[14:15]
	s_and_b32 vcc_lo, vcc_lo, s0
	v_cndmask_b32_e32 v6, 0, v7, vcc_lo
	v_cndmask_b32_e32 v7, 0x3ff00000, v7, vcc_lo
	s_delay_alu instid0(VALU_DEP_2) | instskip(NEXT) | instid1(VALU_DEP_4)
	v_bfi_b32 v13, 0x7fffffff, s39, v6
	v_dual_cndmask_b32 v11, v25, v23, s1 :: v_dual_cndmask_b32 v10, v24, v22, s1
	s_delay_alu instid0(VALU_DEP_1) | instskip(NEXT) | instid1(VALU_DEP_2)
	v_bfi_b32 v7, 0x7fffffff, v11, v7
	v_cndmask_b32_e64 v6, v10, 0, s4
	s_delay_alu instid0(VALU_DEP_2) | instskip(NEXT) | instid1(VALU_DEP_1)
	v_cndmask_b32_e64 v7, v7, v13, s4
	v_add_f64_e64 v[6:7], -v[6:7], 1.0
	s_delay_alu instid0(VALU_DEP_1) | instskip(NEXT) | instid1(VALU_DEP_1)
	v_cvt_f32_f64_e32 v10, v[6:7]
	v_readfirstlane_b32 s0, v10
	s_mul_f32 s1, s0, 0x4f800000
	s_cmp_lt_f32 s0, 0xf800000
	s_delay_alu instid0(SALU_CYCLE_2) | instskip(NEXT) | instid1(SALU_CYCLE_1)
	s_cselect_b32 s42, s1, s0
	v_s_sqrt_f32 s0, s42
	s_mov_b32 s3, s42
	s_delay_alu instid0(TRANS32_DEP_1) | instskip(NEXT) | instid1(SALU_CYCLE_1)
	s_add_co_i32 s1, s0, -1
	s_xor_b32 s4, s1, 0x80000000
	s_delay_alu instid0(SALU_CYCLE_1) | instskip(SKIP_1) | instid1(SALU_CYCLE_2)
	s_fmac_f32 s3, s4, s0
	s_mov_b32 s4, s42
	s_cmp_le_f32 s3, 0
	s_cselect_b32 s1, s1, s0
	s_add_co_i32 s3, s0, 1
	s_delay_alu instid0(SALU_CYCLE_1) | instskip(NEXT) | instid1(SALU_CYCLE_1)
	s_xor_b32 s39, s3, 0x80000000
	s_fmac_f32 s4, s39, s0
	s_delay_alu instid0(SALU_CYCLE_3)
	s_cmp_gt_f32 s4, 0
	s_cselect_b32 s43, s3, s1
	s_bitcmp1_b32 s40, 8
	s_cselect_b32 s39, -1, 0
	s_bitcmp1_b32 s40, 16
	s_cselect_b32 s0, -1, 0
	s_delay_alu instid0(SALU_CYCLE_1)
	s_xor_b32 s40, s0, -1
	s_cmp_neq_f32 s36, 0
	s_cselect_b32 s41, -1, 0
	s_cmp_neq_f32 s6, 1.0
	s_cselect_b32 vcc_lo, -1, 0
	v_cndmask_b32_e32 v7, 0x3ff00000, v5, vcc_lo
	v_cndmask_b32_e32 v6, 0, v4, vcc_lo
	v_cvt_f64_f32_e32 v[4:5], s6
	s_delay_alu instid0(VALU_DEP_2) | instskip(NEXT) | instid1(VALU_DEP_2)
	v_cmp_neq_f64_e32 vcc_lo, 0, v[6:7]
	v_cndmask_b32_e32 v5, 0x3ff00000, v5, vcc_lo
	s_delay_alu instid0(VALU_DEP_3) | instskip(NEXT) | instid1(VALU_DEP_1)
	v_cndmask_b32_e32 v4, 0, v4, vcc_lo
	v_frexp_mant_f64_e64 v[14:15], |v[4:5]|
	v_frexp_exp_i32_f64_e32 v11, v[4:5]
	v_cmp_class_f64_e64 s4, v[4:5], 0x204
	s_delay_alu instid0(VALU_DEP_3) | instskip(SKIP_4) | instid1(VALU_DEP_2)
	v_cmp_gt_f64_e32 vcc_lo, s[30:31], v[14:15]
	s_sub_f32 s31, 1.0, s7
	s_mov_b32 s30, s7
	v_cndmask_b32_e64 v13, 0, 1, vcc_lo
	v_subrev_co_ci_u32_e64 v11, null, 0, v11, vcc_lo
	v_ldexp_f64 v[14:15], v[14:15], v13
	s_delay_alu instid0(VALU_DEP_1) | instskip(SKIP_1) | instid1(VALU_DEP_2)
	v_add_f64_e32 v[16:17], 1.0, v[14:15]
	v_add_f64_e32 v[22:23], -1.0, v[14:15]
	v_rcp_f64_e32 v[18:19], v[16:17]
	v_add_f64_e32 v[24:25], -1.0, v[16:17]
	s_delay_alu instid0(VALU_DEP_1) | instskip(NEXT) | instid1(TRANS32_DEP_1)
	v_add_f64_e64 v[14:15], v[14:15], -v[24:25]
	v_fma_f64 v[20:21], -v[16:17], v[18:19], 1.0
	s_delay_alu instid0(VALU_DEP_1) | instskip(NEXT) | instid1(VALU_DEP_1)
	v_fmac_f64_e32 v[18:19], v[20:21], v[18:19]
	v_fma_f64 v[20:21], -v[16:17], v[18:19], 1.0
	s_delay_alu instid0(VALU_DEP_1) | instskip(NEXT) | instid1(VALU_DEP_1)
	v_fmac_f64_e32 v[18:19], v[20:21], v[18:19]
	v_mul_f64_e32 v[20:21], v[22:23], v[18:19]
	s_delay_alu instid0(VALU_DEP_1) | instskip(NEXT) | instid1(VALU_DEP_1)
	v_mul_f64_e32 v[26:27], v[16:17], v[20:21]
	v_fma_f64 v[16:17], v[20:21], v[16:17], -v[26:27]
	s_delay_alu instid0(VALU_DEP_1) | instskip(NEXT) | instid1(VALU_DEP_1)
	v_fmac_f64_e32 v[16:17], v[20:21], v[14:15]
	v_add_f64_e32 v[14:15], v[26:27], v[16:17]
	s_delay_alu instid0(VALU_DEP_1) | instskip(SKIP_1) | instid1(VALU_DEP_2)
	v_add_f64_e64 v[24:25], v[22:23], -v[14:15]
	v_add_f64_e64 v[26:27], v[14:15], -v[26:27]
	;; [unrolled: 1-line block ×3, first 2 shown]
	s_delay_alu instid0(VALU_DEP_2) | instskip(NEXT) | instid1(VALU_DEP_2)
	v_add_f64_e64 v[16:17], v[26:27], -v[16:17]
	v_add_f64_e64 v[14:15], v[22:23], -v[14:15]
	s_delay_alu instid0(VALU_DEP_1) | instskip(NEXT) | instid1(VALU_DEP_1)
	v_add_f64_e32 v[14:15], v[16:17], v[14:15]
	v_add_f64_e32 v[14:15], v[24:25], v[14:15]
	v_mov_b64_e32 v[24:25], 0x3fbe25e43abe935a
	s_delay_alu instid0(VALU_DEP_2) | instskip(NEXT) | instid1(VALU_DEP_1)
	v_mul_f64_e32 v[14:15], v[18:19], v[14:15]
	v_add_f64_e32 v[16:17], v[20:21], v[14:15]
	s_delay_alu instid0(VALU_DEP_1) | instskip(SKIP_1) | instid1(VALU_DEP_2)
	v_add_f64_e64 v[18:19], v[16:17], -v[20:21]
	v_mul_f64_e32 v[20:21], v[16:17], v[16:17]
	v_add_f64_e64 v[14:15], v[14:15], -v[18:19]
	s_delay_alu instid0(VALU_DEP_2) | instskip(NEXT) | instid1(VALU_DEP_2)
	v_fma_f64 v[18:19], v[16:17], v[16:17], -v[20:21]
	v_add_f64_e32 v[22:23], v[14:15], v[14:15]
	s_delay_alu instid0(VALU_DEP_1) | instskip(NEXT) | instid1(VALU_DEP_1)
	v_fmac_f64_e32 v[18:19], v[16:17], v[22:23]
	v_add_f64_e32 v[22:23], v[20:21], v[18:19]
	s_delay_alu instid0(VALU_DEP_1) | instskip(SKIP_1) | instid1(VALU_DEP_2)
	v_fmac_f64_e32 v[8:9], 0x3fbdee674222de17, v[22:23]
	v_mul_f64_e32 v[28:29], v[16:17], v[22:23]
	v_fmac_f64_e32 v[24:25], v[22:23], v[8:9]
	v_mov_b64_e32 v[8:9], 0x3fc110ef47e6c9c2
	s_delay_alu instid0(VALU_DEP_3) | instskip(NEXT) | instid1(VALU_DEP_2)
	v_fma_f64 v[30:31], v[22:23], v[16:17], -v[28:29]
	v_fmac_f64_e32 v[8:9], v[22:23], v[24:25]
	v_mov_b64_e32 v[24:25], 0x3fc3b13bcfa74449
	s_delay_alu instid0(VALU_DEP_3) | instskip(SKIP_1) | instid1(VALU_DEP_3)
	v_fmac_f64_e32 v[30:31], v[22:23], v[14:15]
	v_ldexp_f64 v[14:15], v[14:15], 1
	v_fmac_f64_e32 v[24:25], v[22:23], v[8:9]
	v_mov_b64_e32 v[8:9], 0x3fc745d171bf3c30
	s_delay_alu instid0(VALU_DEP_1) | instskip(SKIP_1) | instid1(VALU_DEP_1)
	v_fmac_f64_e32 v[8:9], v[22:23], v[24:25]
	v_mov_b64_e32 v[24:25], 0x3fcc71c71c7792ce
	v_fmac_f64_e32 v[24:25], v[22:23], v[8:9]
	v_mov_b64_e32 v[8:9], 0x3fd24924924920da
	s_delay_alu instid0(VALU_DEP_1) | instskip(SKIP_1) | instid1(VALU_DEP_1)
	v_fmac_f64_e32 v[8:9], v[22:23], v[24:25]
	v_mov_b64_e32 v[24:25], 0x3fd999999999999c
	v_fmac_f64_e32 v[24:25], v[22:23], v[8:9]
	v_add_f64_e64 v[8:9], v[22:23], -v[20:21]
	s_delay_alu instid0(VALU_DEP_2) | instskip(NEXT) | instid1(VALU_DEP_2)
	v_mul_f64_e32 v[20:21], v[22:23], v[24:25]
	v_add_f64_e64 v[8:9], v[18:19], -v[8:9]
	s_delay_alu instid0(VALU_DEP_2) | instskip(NEXT) | instid1(VALU_DEP_2)
	v_fma_f64 v[18:19], v[22:23], v[24:25], -v[20:21]
	v_fmac_f64_e32 v[30:31], v[8:9], v[16:17]
	v_ldexp_f64 v[16:17], v[16:17], 1
	s_delay_alu instid0(VALU_DEP_3) | instskip(NEXT) | instid1(VALU_DEP_1)
	v_fmac_f64_e32 v[18:19], v[8:9], v[24:25]
	v_add_f64_e32 v[24:25], v[20:21], v[18:19]
	s_delay_alu instid0(VALU_DEP_1) | instskip(SKIP_1) | instid1(VALU_DEP_2)
	v_add_f64_e64 v[20:21], v[24:25], -v[20:21]
	v_add_f64_e32 v[26:27], 0x3fe5555555555555, v[24:25]
	v_add_f64_e64 v[18:19], v[18:19], -v[20:21]
	s_delay_alu instid0(VALU_DEP_2) | instskip(NEXT) | instid1(VALU_DEP_2)
	v_add_f64_e32 v[20:21], 0xbfe5555555555555, v[26:27]
	v_add_f64_e32 v[18:19], 0x3c8543b0d5df274d, v[18:19]
	s_delay_alu instid0(VALU_DEP_2) | instskip(NEXT) | instid1(VALU_DEP_1)
	v_add_f64_e64 v[20:21], v[24:25], -v[20:21]
	v_add_f64_e32 v[18:19], v[18:19], v[20:21]
	v_add_f64_e32 v[20:21], v[28:29], v[30:31]
	s_delay_alu instid0(VALU_DEP_2) | instskip(NEXT) | instid1(VALU_DEP_1)
	v_add_f64_e32 v[8:9], v[26:27], v[18:19]
	v_add_f64_e64 v[22:23], v[26:27], -v[8:9]
	s_delay_alu instid0(VALU_DEP_3) | instskip(SKIP_1) | instid1(VALU_DEP_3)
	v_mul_f64_e32 v[24:25], v[20:21], v[8:9]
	v_add_f64_e64 v[26:27], v[20:21], -v[28:29]
	v_add_f64_e32 v[18:19], v[18:19], v[22:23]
	s_delay_alu instid0(VALU_DEP_3) | instskip(NEXT) | instid1(VALU_DEP_3)
	v_fma_f64 v[22:23], v[20:21], v[8:9], -v[24:25]
	v_add_f64_e64 v[26:27], v[30:31], -v[26:27]
	s_delay_alu instid0(VALU_DEP_2) | instskip(SKIP_1) | instid1(VALU_DEP_2)
	v_fmac_f64_e32 v[22:23], v[20:21], v[18:19]
	v_cvt_f64_i32_e32 v[18:19], v11
	v_fmac_f64_e32 v[22:23], v[26:27], v[8:9]
	s_delay_alu instid0(VALU_DEP_2) | instskip(NEXT) | instid1(VALU_DEP_2)
	v_mul_f64_e32 v[26:27], 0x3fe62e42fefa39ef, v[18:19]
	v_add_f64_e32 v[8:9], v[24:25], v[22:23]
	s_delay_alu instid0(VALU_DEP_1) | instskip(SKIP_1) | instid1(VALU_DEP_2)
	v_add_f64_e64 v[20:21], v[8:9], -v[24:25]
	v_add_f64_e32 v[24:25], v[16:17], v[8:9]
	v_add_f64_e64 v[20:21], v[22:23], -v[20:21]
	s_delay_alu instid0(VALU_DEP_2) | instskip(SKIP_2) | instid1(VALU_DEP_3)
	v_add_f64_e64 v[16:17], v[24:25], -v[16:17]
	v_fma_f64 v[22:23], v[18:19], s[28:29], -v[26:27]
	s_mov_b32 s29, 0
	v_add_f64_e32 v[14:15], v[14:15], v[20:21]
	s_delay_alu instid0(VALU_DEP_3) | instskip(NEXT) | instid1(VALU_DEP_3)
	v_add_f64_e64 v[8:9], v[8:9], -v[16:17]
	v_fmac_f64_e32 v[22:23], 0x3c7abc9e3b39803f, v[18:19]
	s_delay_alu instid0(VALU_DEP_2) | instskip(NEXT) | instid1(VALU_DEP_2)
	v_add_f64_e32 v[8:9], v[14:15], v[8:9]
	v_add_f64_e32 v[14:15], v[26:27], v[22:23]
	s_delay_alu instid0(VALU_DEP_2) | instskip(NEXT) | instid1(VALU_DEP_2)
	v_add_f64_e32 v[16:17], v[24:25], v[8:9]
	v_add_f64_e64 v[26:27], v[14:15], -v[26:27]
	s_delay_alu instid0(VALU_DEP_2) | instskip(SKIP_1) | instid1(VALU_DEP_3)
	v_add_f64_e32 v[18:19], v[14:15], v[16:17]
	v_add_f64_e64 v[24:25], v[16:17], -v[24:25]
	v_add_f64_e64 v[22:23], v[22:23], -v[26:27]
	s_delay_alu instid0(VALU_DEP_3) | instskip(NEXT) | instid1(VALU_DEP_3)
	v_add_f64_e64 v[20:21], v[18:19], -v[14:15]
	v_add_f64_e64 v[8:9], v[8:9], -v[24:25]
	s_delay_alu instid0(VALU_DEP_2) | instskip(SKIP_1) | instid1(VALU_DEP_3)
	v_add_f64_e64 v[28:29], v[18:19], -v[20:21]
	v_add_f64_e64 v[16:17], v[16:17], -v[20:21]
	v_add_f64_e32 v[20:21], v[22:23], v[8:9]
	s_delay_alu instid0(VALU_DEP_3) | instskip(NEXT) | instid1(VALU_DEP_1)
	v_add_f64_e64 v[14:15], v[14:15], -v[28:29]
	v_add_f64_e32 v[14:15], v[16:17], v[14:15]
	s_delay_alu instid0(VALU_DEP_3) | instskip(NEXT) | instid1(VALU_DEP_2)
	v_add_f64_e64 v[16:17], v[20:21], -v[22:23]
	v_add_f64_e32 v[14:15], v[20:21], v[14:15]
	s_delay_alu instid0(VALU_DEP_2) | instskip(SKIP_1) | instid1(VALU_DEP_3)
	v_add_f64_e64 v[20:21], v[20:21], -v[16:17]
	v_add_f64_e64 v[8:9], v[8:9], -v[16:17]
	v_add_f64_e32 v[24:25], v[18:19], v[14:15]
	s_delay_alu instid0(VALU_DEP_3) | instskip(NEXT) | instid1(VALU_DEP_2)
	v_add_f64_e64 v[16:17], v[22:23], -v[20:21]
	v_add_f64_e64 v[18:19], v[24:25], -v[18:19]
	s_delay_alu instid0(VALU_DEP_2) | instskip(NEXT) | instid1(VALU_DEP_2)
	v_add_f64_e32 v[8:9], v[8:9], v[16:17]
	v_add_f64_e64 v[14:15], v[14:15], -v[18:19]
	s_delay_alu instid0(VALU_DEP_1) | instskip(NEXT) | instid1(VALU_DEP_1)
	v_add_f64_e32 v[8:9], v[8:9], v[14:15]
	v_add_f64_e32 v[14:15], v[24:25], v[8:9]
	s_delay_alu instid0(VALU_DEP_1) | instskip(SKIP_2) | instid1(VALU_DEP_3)
	v_add_f64_e64 v[16:17], v[14:15], -v[24:25]
	v_mul_f64_e32 v[18:19], v[6:7], v[14:15]
	v_mov_b64_e32 v[24:25], 0x3ec71dee623fde64
	v_add_f64_e64 v[8:9], v[8:9], -v[16:17]
	s_delay_alu instid0(VALU_DEP_3) | instskip(SKIP_1) | instid1(VALU_DEP_2)
	v_fma_f64 v[14:15], v[6:7], v[14:15], -v[18:19]
	v_cmp_class_f64_e64 vcc_lo, v[18:19], 0x204
	v_fmac_f64_e32 v[14:15], v[6:7], v[8:9]
	s_delay_alu instid0(VALU_DEP_1) | instskip(NEXT) | instid1(VALU_DEP_1)
	v_add_f64_e32 v[8:9], v[18:19], v[14:15]
	v_dual_cndmask_b32 v17, v9, v19 :: v_dual_cndmask_b32 v16, v8, v18
	v_add_f64_e64 v[8:9], v[8:9], -v[18:19]
	v_mul_f64_e32 v[18:19], 0.5, v[6:7]
	v_cmp_eq_f64_e32 vcc_lo, 0, v[4:5]
	s_delay_alu instid0(VALU_DEP_4)
	v_mul_f64_e32 v[20:21], 0x3ff71547652b82fe, v[16:17]
	v_cmp_nlt_f64_e64 s0, 0x40900000, v[16:17]
	v_cmp_ngt_f64_e64 s1, 0xc090cc00, v[16:17]
	v_cmp_neq_f64_e64 s3, 0x7ff00000, |v[16:17]|
	v_add_f64_e64 v[8:9], v[14:15], -v[8:9]
	v_trunc_f64_e32 v[14:15], v[6:7]
	s_or_b32 s4, vcc_lo, s4
	s_and_b32 s28, vcc_lo, exec_lo
	v_rndne_f64_e32 v[20:21], v[20:21]
	s_cselect_b32 s28, 0, 0x7ff00000
	s_and_b32 vcc_lo, s1, s0
	s_delay_alu instid0(VALU_DEP_3) | instskip(SKIP_1) | instid1(VALU_DEP_2)
	v_dual_cndmask_b32 v9, 0, v9, s3 :: v_dual_cndmask_b32 v8, 0, v8, s3
	s_sub_f32 s3, 1.0, s6
	v_fmamk_f64 v[22:23], v[20:21], 0xbfe62e42fefa39ef, v[16:17]
	v_cvt_i32_f64_e32 v11, v[20:21]
	v_trunc_f64_e32 v[16:17], v[18:19]
	s_delay_alu instid0(VALU_DEP_3) | instskip(NEXT) | instid1(VALU_DEP_1)
	v_fmac_f64_e32 v[22:23], 0xbc7abc9e3b39803f, v[20:21]
	v_fmac_f64_e32 v[2:3], 0x3e5ade156a5dcb37, v[22:23]
	s_delay_alu instid0(VALU_DEP_1) | instskip(SKIP_1) | instid1(VALU_DEP_1)
	v_fmac_f64_e32 v[24:25], v[22:23], v[2:3]
	v_mov_b64_e32 v[2:3], 0x3efa01997c89e6b0
	v_fmac_f64_e32 v[2:3], v[22:23], v[24:25]
	v_mov_b64_e32 v[24:25], 0x3f2a01a014761f6e
	s_delay_alu instid0(VALU_DEP_1) | instskip(SKIP_1) | instid1(VALU_DEP_1)
	v_fmac_f64_e32 v[24:25], v[22:23], v[2:3]
	v_mov_b64_e32 v[2:3], 0x3f56c16c1852b7b0
	v_fmac_f64_e32 v[2:3], v[22:23], v[24:25]
	v_mov_b64_e32 v[24:25], 0x3f81111111122322
	;; [unrolled: 5-line block ×3, first 2 shown]
	s_delay_alu instid0(VALU_DEP_1) | instskip(SKIP_1) | instid1(VALU_DEP_1)
	v_fmac_f64_e32 v[24:25], v[22:23], v[2:3]
	v_mov_b64_e32 v[2:3], 0x3fe000000000000b
	v_fmac_f64_e32 v[2:3], v[22:23], v[24:25]
	s_delay_alu instid0(VALU_DEP_1) | instskip(NEXT) | instid1(VALU_DEP_1)
	v_fma_f64 v[2:3], v[22:23], v[2:3], 1.0
	v_fma_f64 v[2:3], v[22:23], v[2:3], 1.0
	s_delay_alu instid0(VALU_DEP_1) | instskip(NEXT) | instid1(VALU_DEP_1)
	v_ldexp_f64 v[2:3], v[2:3], v11
	v_cndmask_b32_e64 v3, 0x7ff00000, v3, s0
	s_delay_alu instid0(VALU_DEP_2) | instskip(SKIP_2) | instid1(VALU_DEP_4)
	v_cndmask_b32_e32 v2, 0, v2, vcc_lo
	v_cmp_eq_f64_e32 vcc_lo, v[14:15], v[6:7]
	v_cmp_neq_f64_e64 s0, v[16:17], v[18:19]
	v_cndmask_b32_e64 v3, 0, v3, s1
	s_delay_alu instid0(VALU_DEP_1) | instskip(SKIP_1) | instid1(VALU_DEP_2)
	v_mov_b64_e32 v[20:21], v[2:3]
	v_cmp_class_f64_e64 s1, v[2:3], 0x204
	v_fmac_f64_e32 v[20:21], v[20:21], v[8:9]
	s_and_b32 vcc_lo, vcc_lo, s0
	s_mul_f32 s0, s43, 0x37800000
	v_cndmask_b32_e32 v4, 0, v5, vcc_lo
	v_cndmask_b32_e32 v5, 0x3ff00000, v5, vcc_lo
	s_cmp_lg_u64 s[12:13], 0
	s_cselect_b32 s7, -1, 0
	s_delay_alu instid0(VALU_DEP_2) | instskip(SKIP_2) | instid1(VALU_DEP_4)
	v_bfi_b32 v4, 0x7fffffff, s28, v4
	s_mul_i32 s28, s54, s38
	s_mov_b32 s38, s29
	v_dual_cndmask_b32 v3, v21, v3, s1 :: v_dual_cndmask_b32 v2, v20, v2, s1
	s_mul_f32 s1, s5, s36
	s_delay_alu instid0(VALU_DEP_1) | instskip(NEXT) | instid1(VALU_DEP_2)
	v_bfi_b32 v3, 0x7fffffff, v3, v5
	v_cndmask_b32_e64 v2, v2, 0, s4
	s_delay_alu instid0(VALU_DEP_2) | instskip(NEXT) | instid1(VALU_DEP_1)
	v_cndmask_b32_e64 v3, v3, v4, s4
	v_add_f64_e64 v[2:3], -v[2:3], 1.0
	s_delay_alu instid0(VALU_DEP_1) | instskip(NEXT) | instid1(VALU_DEP_1)
	v_cvt_f32_f64_e32 v4, v[2:3]
	v_div_scale_f32 v2, null, v4, v4, s5
	v_div_scale_f32 v7, vcc_lo, s5, v4, s5
	s_delay_alu instid0(VALU_DEP_2)
	v_rcp_f32_e32 v5, v2
	v_xor_b32_e32 v6, 0x80000000, v2
	s_delay_alu instid0(TRANS32_DEP_1) | instid1(VALU_DEP_1)
	v_fma_f32 v2, v6, v5, 1.0
	s_delay_alu instid0(VALU_DEP_1) | instskip(SKIP_1) | instid1(VALU_DEP_2)
	v_fmac_f32_e32 v5, v2, v5
	v_lshlrev_b64_e32 v[2:3], 2, v[0:1]
	v_mul_f32_e32 v8, v7, v5
	s_delay_alu instid0(VALU_DEP_1) | instskip(NEXT) | instid1(VALU_DEP_1)
	v_fma_f32 v9, v6, v8, v7
	v_dual_fmac_f32 v8, v9, v5 :: v_dual_mov_b32 v9, s0
	v_cmp_gt_f32_e64 s0, 0xf800000, v10
	s_delay_alu instid0(VALU_DEP_1) | instskip(SKIP_1) | instid1(VALU_DEP_2)
	v_dual_fmac_f32 v7, v6, v8 :: v_dual_cndmask_b32 v6, s43, v9, s0
	v_cmp_class_f32_e64 s0, s42, 0x260
	v_div_fmas_f32 v5, v7, v5, v8
	s_delay_alu instid0(VALU_DEP_2) | instskip(NEXT) | instid1(VALU_DEP_2)
	v_cndmask_b32_e64 v8, v6, s42, s0
	v_div_fixup_f32 v9, v5, v4, s5
	v_lshl_add_u64 v[4:5], v[0:1], 1, s[12:13]
	s_lshl_b64 s[4:5], s[28:29], 2
	s_lshl_b64 s[12:13], s[28:29], 1
	s_branch .LBB2_23
.LBB2_22:                               ;   in Loop: Header=BB2_23 Depth=1
	v_add_nc_u64_e32 v[0:1], s[28:29], v[0:1]
	s_wait_xcnt 0x0
	v_add_nc_u64_e32 v[4:5], s[12:13], v[4:5]
	s_add_nc_u64 s[14:15], s[14:15], s[4:5]
	s_add_nc_u64 s[8:9], s[8:9], s[4:5]
	;; [unrolled: 1-line block ×5, first 2 shown]
	v_cmp_le_u64_e32 vcc_lo, s[34:35], v[0:1]
	s_add_nc_u64 s[26:27], s[26:27], s[4:5]
	s_add_nc_u64 s[10:11], s[10:11], s[4:5]
	;; [unrolled: 1-line block ×4, first 2 shown]
	s_or_b32 s38, vcc_lo, s38
	s_delay_alu instid0(SALU_CYCLE_1)
	s_and_not1_b32 exec_lo, exec_lo, s38
	s_cbranch_execz .LBB2_34
.LBB2_23:                               ; =>This Inner Loop Header: Depth=1
	v_add_nc_u64_e32 v[6:7], s[14:15], v[2:3]
	v_add_nc_u64_e32 v[14:15], s[8:9], v[2:3]
	v_add_nc_u64_e32 v[16:17], s[16:17], v[2:3]
	v_add_nc_u64_e32 v[18:19], s[20:21], v[2:3]
	global_load_b32 v7, v[6:7], off
	global_load_b32 v10, v[14:15], off
	;; [unrolled: 1-line block ×4, first 2 shown]
	s_wait_loadcnt 0x3
	v_div_scale_f32 v13, null, v12, v12, v7
	s_wait_xcnt 0x2
	s_delay_alu instid0(VALU_DEP_1) | instskip(SKIP_1) | instid1(TRANS32_DEP_1)
	v_rcp_f32_e32 v14, v13
	v_nop
	v_fma_f32 v15, -v13, v14, 1.0
	s_delay_alu instid0(VALU_DEP_1) | instskip(SKIP_2) | instid1(VALU_DEP_1)
	v_fmac_f32_e32 v14, v15, v14
	v_div_scale_f32 v15, vcc_lo, v7, v12, v7
	s_wait_xcnt 0x1
	v_mul_f32_e32 v16, v15, v14
	s_delay_alu instid0(VALU_DEP_1) | instskip(NEXT) | instid1(VALU_DEP_1)
	v_fma_f32 v17, -v13, v16, v15
	v_fmac_f32_e32 v16, v17, v14
	s_delay_alu instid0(VALU_DEP_1) | instskip(NEXT) | instid1(VALU_DEP_1)
	v_fma_f32 v13, -v13, v16, v15
	v_div_fmas_f32 v13, v13, v14, v16
	s_and_not1_b32 vcc_lo, exec_lo, s41
	s_delay_alu instid0(VALU_DEP_1) | instskip(NEXT) | instid1(VALU_DEP_1)
	v_div_fixup_f32 v13, v13, v12, v7
	v_cndmask_b32_e64 v7, v13, v7, s2
	s_delay_alu instid0(VALU_DEP_1)
	v_cndmask_b32_e64 v13, v7, -v7, s39
	s_cbranch_vccnz .LBB2_29
; %bb.24:                               ;   in Loop: Header=BB2_23 Depth=1
	s_and_b32 vcc_lo, exec_lo, s40
	s_mov_b32 s0, -1
                                        ; implicit-def: $vgpr7
	s_cbranch_vccz .LBB2_26
; %bb.25:                               ;   in Loop: Header=BB2_23 Depth=1
	s_wait_loadcnt 0x2
	v_fma_f32 v7, s36, v10, v13
	s_mov_b32 s0, 0
.LBB2_26:                               ;   in Loop: Header=BB2_23 Depth=1
	s_delay_alu instid0(SALU_CYCLE_1)
	s_and_not1_b32 vcc_lo, exec_lo, s0
	s_cbranch_vccnz .LBB2_28
; %bb.27:                               ;   in Loop: Header=BB2_23 Depth=1
	s_wait_loadcnt 0x2
	v_fma_f32 v10, -s1, v10, v10
	s_branch .LBB2_29
.LBB2_28:                               ;   in Loop: Header=BB2_23 Depth=1
	s_delay_alu instid0(VALU_DEP_1)
	v_mov_b32_e32 v13, v7
.LBB2_29:                               ;   in Loop: Header=BB2_23 Depth=1
	v_mov_b64_e32 v[14:15], s[30:31]
	s_delay_alu instid0(VALU_DEP_2) | instskip(SKIP_2) | instid1(VALU_DEP_1)
	v_mul_f32_e32 v7, v13, v13
	s_and_not1_b32 vcc_lo, exec_lo, s33
	s_wait_loadcnt 0x0
	v_pk_mul_f32 v[6:7], v[14:15], v[6:7]
	s_delay_alu instid0(VALU_DEP_1) | instskip(NEXT) | instid1(VALU_DEP_1)
	v_add_f32_e32 v14, v6, v7
	v_mov_b32_e32 v6, v14
	s_cbranch_vccnz .LBB2_31
; %bb.30:                               ;   in Loop: Header=BB2_23 Depth=1
	v_add_nc_u64_e32 v[6:7], s[24:25], v[2:3]
	v_add_nc_u64_e32 v[16:17], s[26:27], v[2:3]
	global_load_b32 v6, v[6:7], off
	s_wait_xcnt 0x0
	v_max_num_f32_e32 v7, v14, v14
	s_wait_loadcnt 0x0
	v_max_num_f32_e32 v6, v6, v6
	s_delay_alu instid0(VALU_DEP_1)
	v_max_num_f32_e32 v6, v6, v7
	global_store_b32 v[16:17], v6, off
.LBB2_31:                               ;   in Loop: Header=BB2_23 Depth=1
	s_delay_alu instid0(VALU_DEP_1) | instskip(SKIP_3) | instid1(VALU_DEP_3)
	v_mul_f32_e32 v7, 0x4f800000, v6
	v_cmp_gt_f32_e32 vcc_lo, 0xf800000, v6
	v_add_nc_u64_e32 v[20:21], s[22:23], v[2:3]
	s_wait_xcnt 0x0
	v_cndmask_b32_e32 v6, v6, v7, vcc_lo
	s_delay_alu instid0(VALU_DEP_1) | instskip(SKIP_1) | instid1(TRANS32_DEP_1)
	v_sqrt_f32_e32 v7, v6
	v_nop
	v_dual_add_nc_u32 v15, -1, v7 :: v_dual_add_nc_u32 v16, 1, v7
	s_delay_alu instid0(VALU_DEP_1) | instskip(NEXT) | instid1(VALU_DEP_1)
	v_dual_fma_f32 v17, -v15, v7, v6 :: v_dual_fma_f32 v18, -v16, v7, v6
	v_cmp_ge_f32_e64 s0, 0, v17
	s_delay_alu instid0(VALU_DEP_1) | instskip(NEXT) | instid1(VALU_DEP_3)
	v_cndmask_b32_e64 v7, v7, v15, s0
	v_cmp_lt_f32_e64 s0, 0, v18
	s_delay_alu instid0(VALU_DEP_1) | instskip(NEXT) | instid1(VALU_DEP_1)
	v_cndmask_b32_e64 v7, v7, v16, s0
	v_mul_f32_e32 v15, 0x37800000, v7
	s_delay_alu instid0(VALU_DEP_1) | instskip(SKIP_1) | instid1(VALU_DEP_2)
	v_cndmask_b32_e32 v7, v7, v15, vcc_lo
	v_cmp_class_f32_e64 vcc_lo, v6, 0x260
	v_cndmask_b32_e32 v15, v7, v6, vcc_lo
	s_delay_alu instid0(VALU_DEP_1) | instskip(NEXT) | instid1(VALU_DEP_1)
	v_div_scale_f32 v6, null, v8, v8, v15
	v_rcp_f32_e32 v7, v6
	v_nop
	s_delay_alu instid0(TRANS32_DEP_1) | instskip(NEXT) | instid1(VALU_DEP_1)
	v_fma_f32 v16, -v6, v7, 1.0
	v_fmac_f32_e32 v7, v16, v7
	v_div_scale_f32 v17, vcc_lo, v15, v8, v15
	s_delay_alu instid0(VALU_DEP_1) | instskip(NEXT) | instid1(VALU_DEP_1)
	v_mul_f32_e32 v16, v17, v7
	v_fma_f32 v18, -v6, v16, v17
	s_delay_alu instid0(VALU_DEP_1) | instskip(NEXT) | instid1(VALU_DEP_1)
	v_fmac_f32_e32 v16, v18, v7
	v_fma_f32 v6, -v6, v16, v17
	s_delay_alu instid0(VALU_DEP_1) | instskip(SKIP_2) | instid1(VALU_DEP_3)
	v_div_fmas_f32 v17, v6, v7, v16
	v_dual_mul_f32 v6, s6, v11 :: v_dual_mul_f32 v16, s3, v13
	v_mov_b32_e32 v7, s37
	v_div_fixup_f32 v17, v17, v8, v15
	s_delay_alu instid0(VALU_DEP_1) | instskip(NEXT) | instid1(VALU_DEP_1)
	v_pk_add_f32 v[16:17], v[6:7], v[16:17]
	v_mul_f32_e32 v6, v9, v16
	s_delay_alu instid0(VALU_DEP_1) | instskip(SKIP_1) | instid1(VALU_DEP_2)
	v_div_scale_f32 v7, null, v17, v17, v6
	v_div_scale_f32 v15, vcc_lo, v6, v17, v6
	v_rcp_f32_e32 v11, v7
	v_nop
	s_delay_alu instid0(TRANS32_DEP_1) | instskip(NEXT) | instid1(VALU_DEP_1)
	v_fma_f32 v13, -v7, v11, 1.0
	v_fmac_f32_e32 v11, v13, v11
	s_delay_alu instid0(VALU_DEP_1) | instskip(NEXT) | instid1(VALU_DEP_1)
	v_mul_f32_e32 v13, v15, v11
	v_fma_f32 v18, -v7, v13, v15
	s_delay_alu instid0(VALU_DEP_1) | instskip(SKIP_1) | instid1(VALU_DEP_2)
	v_fmac_f32_e32 v13, v18, v11
	v_add_nc_u64_e32 v[18:19], s[18:19], v[2:3]
	v_fma_f32 v7, -v7, v13, v15
	s_delay_alu instid0(VALU_DEP_1) | instskip(SKIP_1) | instid1(VALU_DEP_1)
	v_div_fmas_f32 v7, v7, v11, v13
	s_and_not1_b32 vcc_lo, exec_lo, s7
	v_div_fixup_f32 v11, v7, v17, v6
	v_add_nc_u64_e32 v[6:7], s[10:11], v[2:3]
	s_delay_alu instid0(VALU_DEP_2)
	v_sub_f32_e32 v10, v10, v11
	global_store_b32 v[6:7], v10, off
	global_store_b32 v[18:19], v16, off
	;; [unrolled: 1-line block ×3, first 2 shown]
	s_cbranch_vccnz .LBB2_22
; %bb.32:                               ;   in Loop: Header=BB2_23 Depth=1
	global_load_b32 v6, v[6:7], off
	s_wait_loadcnt 0x0
	v_cvt_f16_f32_e32 v6, v6
	global_store_b16 v[4:5], v6, off
	s_branch .LBB2_22
.LBB2_33:
	s_cbranch_execnz .LBB2_18
.LBB2_34:
	s_endpgm
	.section	.rodata,"a",@progbits
	.p2align	6, 0x0
	.amdhsa_kernel AmpAdamContiguous
		.amdhsa_group_segment_fixed_size 0
		.amdhsa_private_segment_fixed_size 0
		.amdhsa_kernarg_size 392
		.amdhsa_user_sgpr_count 2
		.amdhsa_user_sgpr_dispatch_ptr 0
		.amdhsa_user_sgpr_queue_ptr 0
		.amdhsa_user_sgpr_kernarg_segment_ptr 1
		.amdhsa_user_sgpr_dispatch_id 0
		.amdhsa_user_sgpr_kernarg_preload_length 0
		.amdhsa_user_sgpr_kernarg_preload_offset 0
		.amdhsa_user_sgpr_private_segment_size 0
		.amdhsa_wavefront_size32 1
		.amdhsa_uses_dynamic_stack 0
		.amdhsa_enable_private_segment 0
		.amdhsa_system_sgpr_workgroup_id_x 1
		.amdhsa_system_sgpr_workgroup_id_y 0
		.amdhsa_system_sgpr_workgroup_id_z 0
		.amdhsa_system_sgpr_workgroup_info 0
		.amdhsa_system_vgpr_workitem_id 0
		.amdhsa_next_free_vgpr 32
		.amdhsa_next_free_sgpr 63
		.amdhsa_named_barrier_count 0
		.amdhsa_reserve_vcc 1
		.amdhsa_float_round_mode_32 0
		.amdhsa_float_round_mode_16_64 0
		.amdhsa_float_denorm_mode_32 3
		.amdhsa_float_denorm_mode_16_64 3
		.amdhsa_fp16_overflow 0
		.amdhsa_memory_ordered 1
		.amdhsa_forward_progress 1
		.amdhsa_inst_pref_size 41
		.amdhsa_round_robin_scheduling 0
		.amdhsa_exception_fp_ieee_invalid_op 0
		.amdhsa_exception_fp_denorm_src 0
		.amdhsa_exception_fp_ieee_div_zero 0
		.amdhsa_exception_fp_ieee_overflow 0
		.amdhsa_exception_fp_ieee_underflow 0
		.amdhsa_exception_fp_ieee_inexact 0
		.amdhsa_exception_int_div_zero 0
	.end_amdhsa_kernel
	.text
.Lfunc_end2:
	.size	AmpAdamContiguous, .Lfunc_end2-AmpAdamContiguous
                                        ; -- End function
	.set AmpAdamContiguous.num_vgpr, 32
	.set AmpAdamContiguous.num_agpr, 0
	.set AmpAdamContiguous.numbered_sgpr, 63
	.set AmpAdamContiguous.num_named_barrier, 0
	.set AmpAdamContiguous.private_seg_size, 0
	.set AmpAdamContiguous.uses_vcc, 1
	.set AmpAdamContiguous.uses_flat_scratch, 0
	.set AmpAdamContiguous.has_dyn_sized_stack, 0
	.set AmpAdamContiguous.has_recursion, 0
	.set AmpAdamContiguous.has_indirect_call, 0
	.section	.AMDGPU.csdata,"",@progbits
; Kernel info:
; codeLenInByte = 5224
; TotalNumSgprs: 65
; NumVgprs: 32
; ScratchSize: 0
; MemoryBound: 0
; FloatMode: 240
; IeeeMode: 1
; LDSByteSize: 0 bytes/workgroup (compile time only)
; SGPRBlocks: 0
; VGPRBlocks: 1
; NumSGPRsForWavesPerEU: 65
; NumVGPRsForWavesPerEU: 32
; NamedBarCnt: 0
; Occupancy: 16
; WaveLimiterHint : 0
; COMPUTE_PGM_RSRC2:SCRATCH_EN: 0
; COMPUTE_PGM_RSRC2:USER_SGPR: 2
; COMPUTE_PGM_RSRC2:TRAP_HANDLER: 0
; COMPUTE_PGM_RSRC2:TGID_X_EN: 1
; COMPUTE_PGM_RSRC2:TGID_Y_EN: 0
; COMPUTE_PGM_RSRC2:TGID_Z_EN: 0
; COMPUTE_PGM_RSRC2:TIDIG_COMP_CNT: 0
	.text
	.protected	AdamUpdateStep          ; -- Begin function AdamUpdateStep
	.globl	AdamUpdateStep
	.p2align	8
	.type	AdamUpdateStep,@function
AdamUpdateStep:                         ; @AdamUpdateStep
; %bb.0:
	s_load_b32 s2, s[0:1], 0x24
	s_bfe_u32 s3, ttmp6, 0x4000c
	s_and_b32 s4, ttmp6, 15
	s_add_co_i32 s3, s3, 1
	s_getreg_b32 s5, hwreg(HW_REG_IB_STS2, 6, 4)
	s_mul_i32 s3, ttmp9, s3
	v_sub_nc_u32_e32 v0, 0, v0
	s_add_co_i32 s4, s4, s3
	s_mov_b32 s8, 0
	s_wait_kmcnt 0x0
	s_and_b32 s2, s2, 0xffff
	s_cmp_eq_u32 s5, 0
	s_cselect_b32 s3, ttmp9, s4
	s_delay_alu instid0(SALU_CYCLE_1)
	s_mul_i32 s3, s3, s2
	s_mov_b32 s2, exec_lo
	v_cmpx_eq_u32_e64 s3, v0
	s_cbranch_execz .LBB3_10
; %bb.1:
	s_clause 0x1
	s_load_b128 s[4:7], s[0:1], 0x0
	s_load_b64 s[2:3], s[0:1], 0x10
	s_wait_kmcnt 0x0
	s_cmp_eq_u64 s[4:5], 0
	s_cselect_b32 s1, -1, 0
	s_delay_alu instid0(SALU_CYCLE_1)
	s_and_b32 vcc_lo, exec_lo, s1
	s_cbranch_vccnz .LBB3_6
; %bb.2:
	v_mov_b32_e32 v0, 0
	global_load_u8 v0, v0, s[4:5]
	s_wait_loadcnt 0x0
	v_and_b32_e32 v0, 1, v0
	s_delay_alu instid0(VALU_DEP_1)
	v_cmp_eq_u32_e32 vcc_lo, 1, v0
	s_cbranch_vccz .LBB3_5
; %bb.3:
	s_cmp_lg_u64 s[6:7], s[2:3]
	s_mov_b32 s1, 0
	s_cbranch_scc0 .LBB3_6
; %bb.4:
	s_load_b32 s0, s[6:7], 0x0
	s_mov_b32 s8, -1
	s_and_b32 vcc_lo, exec_lo, s1
	s_cbranch_vccnz .LBB3_7
	s_branch .LBB3_8
.LBB3_5:
	s_mov_b32 s1, -1
.LBB3_6:
                                        ; implicit-def: $sgpr0
	s_delay_alu instid0(SALU_CYCLE_1)
	s_and_b32 vcc_lo, exec_lo, s1
	s_cbranch_vccz .LBB3_8
.LBB3_7:
	s_wait_kmcnt 0x0
	s_load_b32 s0, s[6:7], 0x0
	s_mov_b32 s8, -1
	s_wait_kmcnt 0x0
	s_add_co_i32 s0, s0, 1
.LBB3_8:
	s_and_not1_b32 vcc_lo, exec_lo, s8
	s_cbranch_vccnz .LBB3_10
; %bb.9:
	s_wait_kmcnt 0x0
	v_dual_mov_b32 v0, 0 :: v_dual_mov_b32 v1, s0
	global_store_b32 v0, v1, s[2:3]
.LBB3_10:
	s_endpgm
	.section	.rodata,"a",@progbits
	.p2align	6, 0x0
	.amdhsa_kernel AdamUpdateStep
		.amdhsa_group_segment_fixed_size 0
		.amdhsa_private_segment_fixed_size 0
		.amdhsa_kernarg_size 280
		.amdhsa_user_sgpr_count 2
		.amdhsa_user_sgpr_dispatch_ptr 0
		.amdhsa_user_sgpr_queue_ptr 0
		.amdhsa_user_sgpr_kernarg_segment_ptr 1
		.amdhsa_user_sgpr_dispatch_id 0
		.amdhsa_user_sgpr_kernarg_preload_length 0
		.amdhsa_user_sgpr_kernarg_preload_offset 0
		.amdhsa_user_sgpr_private_segment_size 0
		.amdhsa_wavefront_size32 1
		.amdhsa_uses_dynamic_stack 0
		.amdhsa_enable_private_segment 0
		.amdhsa_system_sgpr_workgroup_id_x 1
		.amdhsa_system_sgpr_workgroup_id_y 0
		.amdhsa_system_sgpr_workgroup_id_z 0
		.amdhsa_system_sgpr_workgroup_info 0
		.amdhsa_system_vgpr_workitem_id 0
		.amdhsa_next_free_vgpr 2
		.amdhsa_next_free_sgpr 9
		.amdhsa_named_barrier_count 0
		.amdhsa_reserve_vcc 1
		.amdhsa_float_round_mode_32 0
		.amdhsa_float_round_mode_16_64 0
		.amdhsa_float_denorm_mode_32 3
		.amdhsa_float_denorm_mode_16_64 3
		.amdhsa_fp16_overflow 0
		.amdhsa_memory_ordered 1
		.amdhsa_forward_progress 1
		.amdhsa_inst_pref_size 3
		.amdhsa_round_robin_scheduling 0
		.amdhsa_exception_fp_ieee_invalid_op 0
		.amdhsa_exception_fp_denorm_src 0
		.amdhsa_exception_fp_ieee_div_zero 0
		.amdhsa_exception_fp_ieee_overflow 0
		.amdhsa_exception_fp_ieee_underflow 0
		.amdhsa_exception_fp_ieee_inexact 0
		.amdhsa_exception_int_div_zero 0
	.end_amdhsa_kernel
	.text
.Lfunc_end3:
	.size	AdamUpdateStep, .Lfunc_end3-AdamUpdateStep
                                        ; -- End function
	.set AdamUpdateStep.num_vgpr, 2
	.set AdamUpdateStep.num_agpr, 0
	.set AdamUpdateStep.numbered_sgpr, 9
	.set AdamUpdateStep.num_named_barrier, 0
	.set AdamUpdateStep.private_seg_size, 0
	.set AdamUpdateStep.uses_vcc, 1
	.set AdamUpdateStep.uses_flat_scratch, 0
	.set AdamUpdateStep.has_dyn_sized_stack, 0
	.set AdamUpdateStep.has_recursion, 0
	.set AdamUpdateStep.has_indirect_call, 0
	.section	.AMDGPU.csdata,"",@progbits
; Kernel info:
; codeLenInByte = 280
; TotalNumSgprs: 11
; NumVgprs: 2
; ScratchSize: 0
; MemoryBound: 0
; FloatMode: 240
; IeeeMode: 1
; LDSByteSize: 0 bytes/workgroup (compile time only)
; SGPRBlocks: 0
; VGPRBlocks: 0
; NumSGPRsForWavesPerEU: 11
; NumVGPRsForWavesPerEU: 2
; NamedBarCnt: 0
; Occupancy: 16
; WaveLimiterHint : 0
; COMPUTE_PGM_RSRC2:SCRATCH_EN: 0
; COMPUTE_PGM_RSRC2:USER_SGPR: 2
; COMPUTE_PGM_RSRC2:TRAP_HANDLER: 0
; COMPUTE_PGM_RSRC2:TGID_X_EN: 1
; COMPUTE_PGM_RSRC2:TGID_Y_EN: 0
; COMPUTE_PGM_RSRC2:TGID_Z_EN: 0
; COMPUTE_PGM_RSRC2:TIDIG_COMP_CNT: 0
	.text
	.protected	TransformersAdamWContiguous ; -- Begin function TransformersAdamWContiguous
	.globl	TransformersAdamWContiguous
	.p2align	8
	.type	TransformersAdamWContiguous,@function
TransformersAdamWContiguous:            ; @TransformersAdamWContiguous
; %bb.0:
	s_clause 0x1
	s_load_b32 s4, s[0:1], 0x64
	s_load_b64 s[2:3], s[0:1], 0x50
	s_bfe_u32 s5, ttmp6, 0x4000c
	s_and_b32 s6, ttmp6, 15
	s_add_co_i32 s5, s5, 1
	s_getreg_b32 s7, hwreg(HW_REG_IB_STS2, 6, 4)
	s_mul_i32 s5, ttmp9, s5
	v_mov_b32_e32 v1, 0
	s_add_co_i32 s6, s6, s5
	s_mov_b32 s25, 0
	s_wait_kmcnt 0x0
	s_and_b32 s24, s4, 0xffff
	s_cmp_eq_u32 s7, 0
	s_cselect_b32 s4, ttmp9, s6
	s_delay_alu instid0(SALU_CYCLE_1) | instskip(SKIP_1) | instid1(VALU_DEP_1)
	v_mad_u32 v0, s4, s24, v0
	s_mov_b32 s4, exec_lo
	v_cmpx_gt_u64_e64 s[2:3], v[0:1]
	s_cbranch_execz .LBB4_3
; %bb.1:
	s_load_b128 s[20:23], s[0:1], 0x38
	s_add_nc_u64 s[28:29], s[0:1], 0x58
	s_load_b32 s27, s[28:29], 0x0
	s_clause 0x2
	s_load_b256 s[4:11], s[0:1], 0x0
	s_load_b256 s[12:19], s[0:1], 0x20
	s_load_b32 s26, s[0:1], 0x48
	v_lshlrev_b64_e32 v[2:3], 2, v[0:1]
	s_wait_kmcnt 0x0
	s_mul_i32 s24, s27, s24
	s_sub_f32 s0, 1.0, s21
	s_mov_b32 s1, s21
	s_lshl_b64 s[18:19], s[24:25], 2
	s_mov_b32 s21, s25
	v_mov_b64_e32 v[4:5], s[0:1]
	s_sub_f32 s1, 1.0, s20
.LBB4_2:                                ; =>This Inner Loop Header: Depth=1
	v_add_nc_u64_e32 v[6:7], s[8:9], v[2:3]
	v_add_nc_u64_e32 v[8:9], s[14:15], v[2:3]
	;; [unrolled: 1-line block ×3, first 2 shown]
	global_load_b32 v12, v[6:7], off
	global_load_b32 v11, v[8:9], off
	s_wait_xcnt 0x1
	v_add_nc_u64_e32 v[6:7], s[10:11], v[2:3]
	global_load_b32 v8, v[6:7], off
	s_wait_xcnt 0x0
	v_add_nc_u64_e32 v[6:7], s[4:5], v[2:3]
	global_load_b32 v14, v[6:7], off
	s_wait_loadcnt 0x3
	v_mul_f32_e32 v10, v12, v12
	s_wait_loadcnt 0x2
	s_wait_xcnt 0x0
	s_delay_alu instid0(VALU_DEP_1) | instskip(SKIP_1) | instid1(VALU_DEP_1)
	v_pk_mul_f32 v[6:7], v[4:5], v[10:11]
	s_wait_loadcnt 0x1
	v_dual_mul_f32 v8, s20, v8 :: v_dual_add_f32 v15, v6, v7
	s_delay_alu instid0(VALU_DEP_1) | instskip(SKIP_1) | instid1(VALU_DEP_2)
	v_mul_f32_e32 v6, 0x4f800000, v15
	v_cmp_gt_f32_e32 vcc_lo, 0xf800000, v15
	v_cndmask_b32_e32 v9, v15, v6, vcc_lo
	s_delay_alu instid0(VALU_DEP_1) | instskip(SKIP_1) | instid1(TRANS32_DEP_1)
	v_sqrt_f32_e32 v6, v9
	v_nop
	v_dual_add_nc_u32 v7, -1, v6 :: v_dual_add_nc_u32 v10, 1, v6
	s_delay_alu instid0(VALU_DEP_1) | instskip(NEXT) | instid1(VALU_DEP_1)
	v_dual_fma_f32 v11, -v7, v6, v9 :: v_dual_fma_f32 v13, -v10, v6, v9
	v_cmp_ge_f32_e64 s0, 0, v11
	s_delay_alu instid0(VALU_DEP_1) | instskip(NEXT) | instid1(VALU_DEP_3)
	v_cndmask_b32_e64 v6, v6, v7, s0
	v_cmp_lt_f32_e64 s0, 0, v13
	s_delay_alu instid0(VALU_DEP_1) | instskip(NEXT) | instid1(VALU_DEP_1)
	v_dual_mov_b32 v7, s22 :: v_dual_cndmask_b32 v6, v6, v10, s0
	v_mul_f32_e32 v10, 0x37800000, v6
	s_delay_alu instid0(VALU_DEP_1) | instskip(SKIP_1) | instid1(VALU_DEP_2)
	v_dual_cndmask_b32 v10, v6, v10, vcc_lo :: v_dual_mul_f32 v6, s1, v12
	v_cmp_class_f32_e64 vcc_lo, v9, 0x260
	v_cndmask_b32_e32 v9, v10, v9, vcc_lo
	s_delay_alu instid0(VALU_DEP_1) | instskip(NEXT) | instid1(VALU_DEP_1)
	v_pk_add_f32 v[6:7], v[6:7], v[8:9]
	v_mul_f32_e32 v10, s26, v6
	s_delay_alu instid0(VALU_DEP_1) | instskip(SKIP_1) | instid1(VALU_DEP_2)
	v_div_scale_f32 v8, null, v7, v7, v10
	v_div_scale_f32 v12, vcc_lo, v10, v7, v10
	v_rcp_f32_e32 v9, v8
	v_nop
	s_delay_alu instid0(TRANS32_DEP_1) | instskip(NEXT) | instid1(VALU_DEP_1)
	v_fma_f32 v11, -v8, v9, 1.0
	v_fmac_f32_e32 v9, v11, v9
	s_delay_alu instid0(VALU_DEP_1) | instskip(NEXT) | instid1(VALU_DEP_1)
	v_mul_f32_e32 v11, v12, v9
	v_fma_f32 v13, -v8, v11, v12
	s_delay_alu instid0(VALU_DEP_1) | instskip(NEXT) | instid1(VALU_DEP_1)
	v_fmac_f32_e32 v11, v13, v9
	v_fma_f32 v8, -v8, v11, v12
	v_add_nc_u64_e32 v[12:13], s[16:17], v[2:3]
	s_delay_alu instid0(VALU_DEP_2) | instskip(SKIP_2) | instid1(VALU_DEP_3)
	v_div_fmas_f32 v11, v8, v9, v11
	v_cmp_le_u64_e32 vcc_lo, s[2:3], v[0:1]
	v_add_nc_u64_e32 v[8:9], s[6:7], v[2:3]
	v_div_fixup_f32 v7, v11, v7, v10
	v_add_nc_u64_e32 v[10:11], s[12:13], v[2:3]
	v_add_nc_u64_e32 v[2:3], s[18:19], v[2:3]
	s_or_b32 s21, vcc_lo, s21
	s_wait_loadcnt 0x0
	v_sub_f32_e32 v7, v14, v7
	s_delay_alu instid0(VALU_DEP_1)
	v_fma_f32 v7, -s23, v7, v7
	global_store_b32 v[8:9], v7, off
	global_store_b32 v[10:11], v6, off
	global_store_b32 v[12:13], v15, off
	s_wait_xcnt 0x0
	s_and_not1_b32 exec_lo, exec_lo, s21
	s_cbranch_execnz .LBB4_2
.LBB4_3:
	s_endpgm
	.section	.rodata,"a",@progbits
	.p2align	6, 0x0
	.amdhsa_kernel TransformersAdamWContiguous
		.amdhsa_group_segment_fixed_size 0
		.amdhsa_private_segment_fixed_size 0
		.amdhsa_kernarg_size 344
		.amdhsa_user_sgpr_count 2
		.amdhsa_user_sgpr_dispatch_ptr 0
		.amdhsa_user_sgpr_queue_ptr 0
		.amdhsa_user_sgpr_kernarg_segment_ptr 1
		.amdhsa_user_sgpr_dispatch_id 0
		.amdhsa_user_sgpr_kernarg_preload_length 0
		.amdhsa_user_sgpr_kernarg_preload_offset 0
		.amdhsa_user_sgpr_private_segment_size 0
		.amdhsa_wavefront_size32 1
		.amdhsa_uses_dynamic_stack 0
		.amdhsa_enable_private_segment 0
		.amdhsa_system_sgpr_workgroup_id_x 1
		.amdhsa_system_sgpr_workgroup_id_y 0
		.amdhsa_system_sgpr_workgroup_id_z 0
		.amdhsa_system_sgpr_workgroup_info 0
		.amdhsa_system_vgpr_workitem_id 0
		.amdhsa_next_free_vgpr 16
		.amdhsa_next_free_sgpr 30
		.amdhsa_named_barrier_count 0
		.amdhsa_reserve_vcc 1
		.amdhsa_float_round_mode_32 0
		.amdhsa_float_round_mode_16_64 0
		.amdhsa_float_denorm_mode_32 3
		.amdhsa_float_denorm_mode_16_64 3
		.amdhsa_fp16_overflow 0
		.amdhsa_memory_ordered 1
		.amdhsa_forward_progress 1
		.amdhsa_inst_pref_size 6
		.amdhsa_round_robin_scheduling 0
		.amdhsa_exception_fp_ieee_invalid_op 0
		.amdhsa_exception_fp_denorm_src 0
		.amdhsa_exception_fp_ieee_div_zero 0
		.amdhsa_exception_fp_ieee_overflow 0
		.amdhsa_exception_fp_ieee_underflow 0
		.amdhsa_exception_fp_ieee_inexact 0
		.amdhsa_exception_int_div_zero 0
	.end_amdhsa_kernel
	.text
.Lfunc_end4:
	.size	TransformersAdamWContiguous, .Lfunc_end4-TransformersAdamWContiguous
                                        ; -- End function
	.set TransformersAdamWContiguous.num_vgpr, 16
	.set TransformersAdamWContiguous.num_agpr, 0
	.set TransformersAdamWContiguous.numbered_sgpr, 30
	.set TransformersAdamWContiguous.num_named_barrier, 0
	.set TransformersAdamWContiguous.private_seg_size, 0
	.set TransformersAdamWContiguous.uses_vcc, 1
	.set TransformersAdamWContiguous.uses_flat_scratch, 0
	.set TransformersAdamWContiguous.has_dyn_sized_stack, 0
	.set TransformersAdamWContiguous.has_recursion, 0
	.set TransformersAdamWContiguous.has_indirect_call, 0
	.section	.AMDGPU.csdata,"",@progbits
; Kernel info:
; codeLenInByte = 664
; TotalNumSgprs: 32
; NumVgprs: 16
; ScratchSize: 0
; MemoryBound: 0
; FloatMode: 240
; IeeeMode: 1
; LDSByteSize: 0 bytes/workgroup (compile time only)
; SGPRBlocks: 0
; VGPRBlocks: 0
; NumSGPRsForWavesPerEU: 32
; NumVGPRsForWavesPerEU: 16
; NamedBarCnt: 0
; Occupancy: 16
; WaveLimiterHint : 0
; COMPUTE_PGM_RSRC2:SCRATCH_EN: 0
; COMPUTE_PGM_RSRC2:USER_SGPR: 2
; COMPUTE_PGM_RSRC2:TRAP_HANDLER: 0
; COMPUTE_PGM_RSRC2:TGID_X_EN: 1
; COMPUTE_PGM_RSRC2:TGID_Y_EN: 0
; COMPUTE_PGM_RSRC2:TGID_Z_EN: 0
; COMPUTE_PGM_RSRC2:TIDIG_COMP_CNT: 0
	.text
	.protected	TransformersAmpAdamWContiguous ; -- Begin function TransformersAmpAdamWContiguous
	.globl	TransformersAmpAdamWContiguous
	.p2align	8
	.type	TransformersAmpAdamWContiguous,@function
TransformersAmpAdamWContiguous:         ; @TransformersAmpAdamWContiguous
; %bb.0:
	s_clause 0x1
	s_load_b32 s2, s[0:1], 0x7c
	s_load_b64 s[24:25], s[0:1], 0x68
	s_bfe_u32 s3, ttmp6, 0x4000c
	s_and_b32 s4, ttmp6, 15
	s_add_co_i32 s3, s3, 1
	s_getreg_b32 s5, hwreg(HW_REG_IB_STS2, 6, 4)
	s_mul_i32 s3, ttmp9, s3
	v_mov_b32_e32 v3, 0
	s_add_co_i32 s4, s4, s3
	s_cmp_eq_u32 s5, 0
	s_cselect_b32 s26, ttmp9, s4
	s_wait_kmcnt 0x0
	s_and_b32 s28, s2, 0xffff
	s_mov_b32 s2, exec_lo
	v_mad_u32 v2, s26, s28, v0
	s_delay_alu instid0(VALU_DEP_1)
	v_cmpx_gt_u64_e64 s[24:25], v[2:3]
	s_cbranch_execz .LBB5_23
; %bb.1:
	s_load_b128 s[20:23], s[0:1], 0x40
	s_add_nc_u64 s[2:3], s[0:1], 0x70
	s_load_b512 s[4:19], s[0:1], 0x0
	s_load_b32 s29, s[2:3], 0x0
	s_wait_kmcnt 0x0
	s_cmp_eq_u64 s[22:23], 0
	s_cselect_b32 s27, -1, 0
	s_delay_alu instid0(SALU_CYCLE_1)
	s_and_b32 vcc_lo, exec_lo, s27
	s_cbranch_vccnz .LBB5_15
; %bb.2:
	s_load_u8 s22, s[22:23], 0x0
	s_wait_xcnt 0x0
	s_mov_b32 s23, 0
	s_wait_kmcnt 0x0
	s_cmp_lg_u32 s22, 0
	s_cbranch_scc0 .LBB5_22
; %bb.3:
	s_cmp_lt_u32 s26, s29
	v_mov_b32_e32 v1, 0
	s_cselect_b32 s22, 12, 18
	s_mov_b32 s30, exec_lo
	s_add_nc_u64 s[2:3], s[2:3], s[22:23]
	s_load_u16 s2, s[2:3], 0x0
	s_wait_kmcnt 0x0
	v_mad_u32 v0, s26, s2, v0
	s_delay_alu instid0(VALU_DEP_1)
	v_cmpx_gt_u64_e64 s[24:25], v[0:1]
	s_cbranch_execz .LBB5_14
; %bb.4:
	s_cmp_lg_u64 s[4:5], s[6:7]
	v_lshlrev_b64_e32 v[4:5], 2, v[0:1]
	s_cselect_b32 s31, -1, 0
	s_cmp_lg_u64 s[8:9], 0
	v_lshl_add_u64 v[6:7], v[0:1], 1, s[8:9]
	s_cselect_b32 s33, -1, 0
	s_cmp_lg_u64 s[12:13], s[14:15]
	s_mul_i32 s2, s29, s2
	s_mov_b32 s3, 0
	s_cselect_b32 s34, -1, 0
	s_cmp_lg_u64 s[16:17], s[18:19]
	s_mov_b32 s36, s3
	s_cselect_b32 s35, -1, 0
	s_lshl_b64 s[22:23], s[2:3], 2
	s_lshl_b64 s[26:27], s[2:3], 1
	s_branch .LBB5_6
.LBB5_5:                                ;   in Loop: Header=BB5_6 Depth=1
	v_add_nc_u64_e32 v[0:1], s[2:3], v[0:1]
	v_add_nc_u64_e32 v[4:5], s[22:23], v[4:5]
	s_wait_xcnt 0x0
	v_add_nc_u64_e32 v[6:7], s[26:27], v[6:7]
	s_delay_alu instid0(VALU_DEP_3) | instskip(SKIP_1) | instid1(SALU_CYCLE_1)
	v_cmp_le_u64_e32 vcc_lo, s[24:25], v[0:1]
	s_or_b32 s36, vcc_lo, s36
	s_and_not1_b32 exec_lo, exec_lo, s36
	s_cbranch_execz .LBB5_14
.LBB5_6:                                ; =>This Inner Loop Header: Depth=1
	v_add_nc_u64_e32 v[8:9], s[4:5], v[4:5]
	s_and_not1_b32 vcc_lo, exec_lo, s31
	s_cbranch_vccnz .LBB5_8
; %bb.7:                                ;   in Loop: Header=BB5_6 Depth=1
	global_load_b32 v12, v[8:9], off
	v_add_nc_u64_e32 v[10:11], s[6:7], v[4:5]
	s_wait_loadcnt 0x0
	global_store_b32 v[10:11], v12, off
.LBB5_8:                                ;   in Loop: Header=BB5_6 Depth=1
	s_and_not1_b32 vcc_lo, exec_lo, s33
	s_cbranch_vccnz .LBB5_10
; %bb.9:                                ;   in Loop: Header=BB5_6 Depth=1
	global_load_b32 v8, v[8:9], off
	s_wait_loadcnt 0x0
	s_wait_xcnt 0x0
	v_cvt_f16_f32_e32 v8, v8
	global_store_b16 v[6:7], v8, off
.LBB5_10:                               ;   in Loop: Header=BB5_6 Depth=1
	s_and_not1_b32 vcc_lo, exec_lo, s34
	s_cbranch_vccnz .LBB5_12
; %bb.11:                               ;   in Loop: Header=BB5_6 Depth=1
	s_wait_xcnt 0x0
	v_add_nc_u64_e32 v[8:9], s[12:13], v[4:5]
	global_load_b32 v10, v[8:9], off
	s_wait_xcnt 0x0
	v_add_nc_u64_e32 v[8:9], s[14:15], v[4:5]
	s_wait_loadcnt 0x0
	global_store_b32 v[8:9], v10, off
.LBB5_12:                               ;   in Loop: Header=BB5_6 Depth=1
	s_and_not1_b32 vcc_lo, exec_lo, s35
	s_cbranch_vccnz .LBB5_5
; %bb.13:                               ;   in Loop: Header=BB5_6 Depth=1
	s_wait_xcnt 0x0
	v_add_nc_u64_e32 v[8:9], s[16:17], v[4:5]
	global_load_b32 v10, v[8:9], off
	s_wait_xcnt 0x0
	v_add_nc_u64_e32 v[8:9], s[18:19], v[4:5]
	s_wait_loadcnt 0x0
	global_store_b32 v[8:9], v10, off
	s_branch .LBB5_5
.LBB5_14:
	s_or_b32 exec_lo, exec_lo, s30
	s_mov_b32 s27, 0
.LBB5_15:
	s_delay_alu instid0(SALU_CYCLE_1)
	s_and_b32 vcc_lo, exec_lo, s27
	s_cbranch_vccz .LBB5_23
.LBB5_16:
	s_cmp_eq_u64 s[20:21], 0
	v_mov_b32_e32 v10, 1.0
	s_cselect_b32 s2, -1, 0
	s_delay_alu instid0(SALU_CYCLE_1)
	s_and_b32 vcc_lo, exec_lo, s2
	s_cbranch_vccnz .LBB5_18
; %bb.17:
	v_mov_b32_e32 v0, 0
	global_load_b32 v0, v0, s[20:21]
	s_wait_loadcnt 0x0
	v_cvt_f32_i32_e32 v10, v0
.LBB5_18:
	s_wait_xcnt 0x0
	s_clause 0x1
	s_load_b128 s[20:23], s[0:1], 0x50
	s_load_b32 s3, s[0:1], 0x60
	s_cmp_lg_u64 s[8:9], 0
	v_lshl_add_u64 v[0:1], v[2:3], 1, s[8:9]
	v_lshlrev_b64_e32 v[4:5], 2, v[2:3]
	s_mul_i32 s26, s29, s28
	s_mov_b32 s27, 0
	s_delay_alu instid0(SALU_CYCLE_1)
	s_mov_b32 s30, s27
	s_wait_kmcnt 0x0
	s_sub_f32 s8, 1.0, s21
	s_mov_b32 s9, s21
	s_sub_f32 s1, 1.0, s20
	s_cselect_b32 s21, -1, 0
	v_mov_b64_e32 v[6:7], s[8:9]
	s_lshl_b64 s[8:9], s[26:27], 1
	s_lshl_b64 s[28:29], s[26:27], 2
	s_branch .LBB5_20
.LBB5_19:                               ;   in Loop: Header=BB5_20 Depth=1
	v_add_nc_u64_e32 v[2:3], s[26:27], v[2:3]
	s_wait_xcnt 0x0
	v_add_nc_u64_e32 v[0:1], s[8:9], v[0:1]
	v_add_nc_u64_e32 v[4:5], s[28:29], v[4:5]
	s_delay_alu instid0(VALU_DEP_3) | instskip(SKIP_1) | instid1(SALU_CYCLE_1)
	v_cmp_le_u64_e32 vcc_lo, s[24:25], v[2:3]
	s_or_b32 s30, vcc_lo, s30
	s_and_not1_b32 exec_lo, exec_lo, s30
	s_cbranch_execz .LBB5_23
.LBB5_20:                               ; =>This Inner Loop Header: Depth=1
	s_delay_alu instid0(VALU_DEP_2)
	v_add_nc_u64_e32 v[8:9], s[10:11], v[4:5]
	v_add_nc_u64_e32 v[12:13], s[12:13], v[4:5]
	global_load_b32 v11, v[8:9], off
	s_wait_xcnt 0x0
	v_add_nc_u64_e32 v[8:9], s[16:17], v[4:5]
	global_load_b32 v14, v[12:13], off
	s_wait_xcnt 0x0
	v_add_nc_u64_e32 v[12:13], s[4:5], v[4:5]
	global_load_b32 v9, v[8:9], off
	global_load_b32 v15, v[12:13], off
	s_wait_loadcnt 0x3
	s_wait_xcnt 0x1
	v_div_scale_f32 v8, null, v10, v10, v11
	v_div_scale_f32 v16, vcc_lo, v11, v10, v11
	s_wait_xcnt 0x0
	s_delay_alu instid0(VALU_DEP_2) | instskip(SKIP_1) | instid1(TRANS32_DEP_1)
	v_rcp_f32_e32 v12, v8
	v_nop
	v_fma_f32 v13, -v8, v12, 1.0
	s_delay_alu instid0(VALU_DEP_1) | instskip(NEXT) | instid1(VALU_DEP_1)
	v_fmac_f32_e32 v12, v13, v12
	v_mul_f32_e32 v13, v16, v12
	s_delay_alu instid0(VALU_DEP_1) | instskip(NEXT) | instid1(VALU_DEP_1)
	v_fma_f32 v17, -v8, v13, v16
	v_fmac_f32_e32 v13, v17, v12
	s_delay_alu instid0(VALU_DEP_1) | instskip(NEXT) | instid1(VALU_DEP_1)
	v_fma_f32 v8, -v8, v13, v16
	v_div_fmas_f32 v8, v8, v12, v13
	s_delay_alu instid0(VALU_DEP_1) | instskip(NEXT) | instid1(VALU_DEP_1)
	v_div_fixup_f32 v8, v8, v10, v11
	v_cndmask_b32_e64 v11, v8, v11, s2
	s_delay_alu instid0(VALU_DEP_1) | instskip(SKIP_1) | instid1(VALU_DEP_1)
	v_mul_f32_e32 v8, v11, v11
	s_wait_loadcnt 0x1
	v_pk_mul_f32 v[8:9], v[6:7], v[8:9]
	s_delay_alu instid0(VALU_DEP_1) | instskip(NEXT) | instid1(VALU_DEP_1)
	v_add_f32_e32 v18, v8, v9
	v_mul_f32_e32 v8, 0x4f800000, v18
	v_cmp_gt_f32_e32 vcc_lo, 0xf800000, v18
	s_delay_alu instid0(VALU_DEP_2) | instskip(NEXT) | instid1(VALU_DEP_1)
	v_cndmask_b32_e32 v13, v18, v8, vcc_lo
	v_sqrt_f32_e32 v8, v13
	v_nop
	s_delay_alu instid0(TRANS32_DEP_1) | instskip(NEXT) | instid1(VALU_DEP_1)
	v_dual_add_nc_u32 v9, -1, v8 :: v_dual_add_nc_u32 v12, 1, v8
	v_dual_fma_f32 v16, -v9, v8, v13 :: v_dual_fma_f32 v17, -v12, v8, v13
	s_delay_alu instid0(VALU_DEP_1) | instskip(NEXT) | instid1(VALU_DEP_1)
	v_cmp_ge_f32_e64 s0, 0, v16
	v_cndmask_b32_e64 v8, v8, v9, s0
	s_delay_alu instid0(VALU_DEP_3) | instskip(NEXT) | instid1(VALU_DEP_1)
	v_cmp_lt_f32_e64 s0, 0, v17
	v_dual_cndmask_b32 v8, v8, v12, s0 :: v_dual_mul_f32 v12, s20, v14
	s_delay_alu instid0(VALU_DEP_1) | instskip(NEXT) | instid1(VALU_DEP_1)
	v_mul_f32_e32 v9, 0x37800000, v8
	v_cndmask_b32_e32 v16, v8, v9, vcc_lo
	v_cmp_class_f32_e64 vcc_lo, v13, 0x260
	v_dual_mov_b32 v9, s22 :: v_dual_mul_f32 v8, s1, v11
	s_delay_alu instid0(VALU_DEP_3) | instskip(NEXT) | instid1(VALU_DEP_1)
	v_cndmask_b32_e32 v13, v16, v13, vcc_lo
	v_pk_add_f32 v[12:13], v[8:9], v[12:13]
	s_delay_alu instid0(VALU_DEP_1) | instskip(NEXT) | instid1(VALU_DEP_1)
	v_mul_f32_e32 v8, s3, v12
	v_div_scale_f32 v9, null, v13, v13, v8
	v_div_scale_f32 v16, vcc_lo, v8, v13, v8
	s_delay_alu instid0(VALU_DEP_2) | instskip(SKIP_1) | instid1(TRANS32_DEP_1)
	v_rcp_f32_e32 v11, v9
	v_nop
	v_fma_f32 v14, -v9, v11, 1.0
	s_delay_alu instid0(VALU_DEP_1) | instskip(NEXT) | instid1(VALU_DEP_1)
	v_fmac_f32_e32 v11, v14, v11
	v_mul_f32_e32 v14, v16, v11
	s_delay_alu instid0(VALU_DEP_1) | instskip(NEXT) | instid1(VALU_DEP_1)
	v_fma_f32 v17, -v9, v14, v16
	v_fmac_f32_e32 v14, v17, v11
	s_delay_alu instid0(VALU_DEP_1) | instskip(SKIP_1) | instid1(VALU_DEP_2)
	v_fma_f32 v9, -v9, v14, v16
	v_add_nc_u64_e32 v[16:17], s[18:19], v[4:5]
	v_div_fmas_f32 v9, v9, v11, v14
	s_and_not1_b32 vcc_lo, exec_lo, s21
	s_delay_alu instid0(VALU_DEP_1) | instskip(SKIP_1) | instid1(VALU_DEP_1)
	v_div_fixup_f32 v8, v9, v13, v8
	s_wait_loadcnt 0x0
	v_sub_f32_e32 v11, v15, v8
	v_add_nc_u64_e32 v[8:9], s[6:7], v[4:5]
	v_add_nc_u64_e32 v[14:15], s[14:15], v[4:5]
	s_delay_alu instid0(VALU_DEP_3)
	v_fma_f32 v11, -s23, v11, v11
	global_store_b32 v[8:9], v11, off
	global_store_b32 v[14:15], v12, off
	global_store_b32 v[16:17], v18, off
	s_cbranch_vccnz .LBB5_19
; %bb.21:                               ;   in Loop: Header=BB5_20 Depth=1
	global_load_b32 v8, v[8:9], off
	s_wait_loadcnt 0x0
	v_cvt_f16_f32_e32 v8, v8
	global_store_b16 v[0:1], v8, off
	s_branch .LBB5_19
.LBB5_22:
	s_cbranch_execnz .LBB5_16
.LBB5_23:
	s_endpgm
	.section	.rodata,"a",@progbits
	.p2align	6, 0x0
	.amdhsa_kernel TransformersAmpAdamWContiguous
		.amdhsa_group_segment_fixed_size 0
		.amdhsa_private_segment_fixed_size 0
		.amdhsa_kernarg_size 368
		.amdhsa_user_sgpr_count 2
		.amdhsa_user_sgpr_dispatch_ptr 0
		.amdhsa_user_sgpr_queue_ptr 0
		.amdhsa_user_sgpr_kernarg_segment_ptr 1
		.amdhsa_user_sgpr_dispatch_id 0
		.amdhsa_user_sgpr_kernarg_preload_length 0
		.amdhsa_user_sgpr_kernarg_preload_offset 0
		.amdhsa_user_sgpr_private_segment_size 0
		.amdhsa_wavefront_size32 1
		.amdhsa_uses_dynamic_stack 0
		.amdhsa_enable_private_segment 0
		.amdhsa_system_sgpr_workgroup_id_x 1
		.amdhsa_system_sgpr_workgroup_id_y 0
		.amdhsa_system_sgpr_workgroup_id_z 0
		.amdhsa_system_sgpr_workgroup_info 0
		.amdhsa_system_vgpr_workitem_id 0
		.amdhsa_next_free_vgpr 19
		.amdhsa_next_free_sgpr 37
		.amdhsa_named_barrier_count 0
		.amdhsa_reserve_vcc 1
		.amdhsa_float_round_mode_32 0
		.amdhsa_float_round_mode_16_64 0
		.amdhsa_float_denorm_mode_32 3
		.amdhsa_float_denorm_mode_16_64 3
		.amdhsa_fp16_overflow 0
		.amdhsa_memory_ordered 1
		.amdhsa_forward_progress 1
		.amdhsa_inst_pref_size 11
		.amdhsa_round_robin_scheduling 0
		.amdhsa_exception_fp_ieee_invalid_op 0
		.amdhsa_exception_fp_denorm_src 0
		.amdhsa_exception_fp_ieee_div_zero 0
		.amdhsa_exception_fp_ieee_overflow 0
		.amdhsa_exception_fp_ieee_underflow 0
		.amdhsa_exception_fp_ieee_inexact 0
		.amdhsa_exception_int_div_zero 0
	.end_amdhsa_kernel
	.text
.Lfunc_end5:
	.size	TransformersAmpAdamWContiguous, .Lfunc_end5-TransformersAmpAdamWContiguous
                                        ; -- End function
	.set TransformersAmpAdamWContiguous.num_vgpr, 19
	.set TransformersAmpAdamWContiguous.num_agpr, 0
	.set TransformersAmpAdamWContiguous.numbered_sgpr, 37
	.set TransformersAmpAdamWContiguous.num_named_barrier, 0
	.set TransformersAmpAdamWContiguous.private_seg_size, 0
	.set TransformersAmpAdamWContiguous.uses_vcc, 1
	.set TransformersAmpAdamWContiguous.uses_flat_scratch, 0
	.set TransformersAmpAdamWContiguous.has_dyn_sized_stack, 0
	.set TransformersAmpAdamWContiguous.has_recursion, 0
	.set TransformersAmpAdamWContiguous.has_indirect_call, 0
	.section	.AMDGPU.csdata,"",@progbits
; Kernel info:
; codeLenInByte = 1336
; TotalNumSgprs: 39
; NumVgprs: 19
; ScratchSize: 0
; MemoryBound: 0
; FloatMode: 240
; IeeeMode: 1
; LDSByteSize: 0 bytes/workgroup (compile time only)
; SGPRBlocks: 0
; VGPRBlocks: 1
; NumSGPRsForWavesPerEU: 39
; NumVGPRsForWavesPerEU: 19
; NamedBarCnt: 0
; Occupancy: 16
; WaveLimiterHint : 0
; COMPUTE_PGM_RSRC2:SCRATCH_EN: 0
; COMPUTE_PGM_RSRC2:USER_SGPR: 2
; COMPUTE_PGM_RSRC2:TRAP_HANDLER: 0
; COMPUTE_PGM_RSRC2:TGID_X_EN: 1
; COMPUTE_PGM_RSRC2:TGID_Y_EN: 0
; COMPUTE_PGM_RSRC2:TGID_Z_EN: 0
; COMPUTE_PGM_RSRC2:TIDIG_COMP_CNT: 0
	.text
	.protected	TransformersAmpAdamWContiguousWithStep ; -- Begin function TransformersAmpAdamWContiguousWithStep
	.globl	TransformersAmpAdamWContiguousWithStep
	.p2align	8
	.type	TransformersAmpAdamWContiguousWithStep,@function
TransformersAmpAdamWContiguousWithStep: ; @TransformersAmpAdamWContiguousWithStep
; %bb.0:
	s_clause 0x1
	s_load_b32 s2, s[0:1], 0x8c
	s_load_b64 s[28:29], s[0:1], 0x78
	s_bfe_u32 s3, ttmp6, 0x4000c
	s_and_b32 s4, ttmp6, 15
	s_add_co_i32 s3, s3, 1
	s_getreg_b32 s5, hwreg(HW_REG_IB_STS2, 6, 4)
	s_mul_i32 s3, ttmp9, s3
	v_mov_b32_e32 v3, 0
	s_add_co_i32 s4, s4, s3
	s_cmp_eq_u32 s5, 0
	s_cselect_b32 s24, ttmp9, s4
	s_wait_kmcnt 0x0
	s_and_b32 s33, s2, 0xffff
	s_mov_b32 s2, exec_lo
	v_mad_u32 v2, s24, s33, v0
	s_delay_alu instid0(VALU_DEP_1)
	v_cmpx_gt_u64_e64 s[28:29], v[2:3]
	s_cbranch_execz .LBB6_25
; %bb.1:
	s_load_b128 s[20:23], s[0:1], 0x40
	s_add_nc_u64 s[2:3], s[0:1], 0x80
	s_load_b512 s[4:19], s[0:1], 0x0
	s_load_b32 s36, s[2:3], 0x0
	s_wait_kmcnt 0x0
	s_cmp_eq_u64 s[22:23], 0
	s_cselect_b32 s25, -1, 0
	s_delay_alu instid0(SALU_CYCLE_1)
	s_and_b32 vcc_lo, exec_lo, s25
	s_cbranch_vccnz .LBB6_15
; %bb.2:
	s_load_u8 s22, s[22:23], 0x0
	s_wait_xcnt 0x0
	s_mov_b32 s23, 0
	s_wait_kmcnt 0x0
	s_cmp_lg_u32 s22, 0
	s_cbranch_scc0 .LBB6_24
; %bb.3:
	s_cmp_lt_u32 s24, s36
	v_mov_b32_e32 v1, 0
	s_cselect_b32 s22, 12, 18
	s_mov_b32 s26, exec_lo
	s_add_nc_u64 s[2:3], s[2:3], s[22:23]
	s_load_u16 s2, s[2:3], 0x0
	s_wait_kmcnt 0x0
	v_mad_u32 v0, s24, s2, v0
	s_delay_alu instid0(VALU_DEP_1)
	v_cmpx_gt_u64_e64 s[28:29], v[0:1]
	s_cbranch_execz .LBB6_14
; %bb.4:
	s_cmp_lg_u64 s[4:5], s[6:7]
	v_lshlrev_b64_e32 v[4:5], 2, v[0:1]
	s_cselect_b32 s27, -1, 0
	s_cmp_lg_u64 s[8:9], 0
	v_lshl_add_u64 v[6:7], v[0:1], 1, s[8:9]
	s_cselect_b32 s30, -1, 0
	s_cmp_lg_u64 s[12:13], s[14:15]
	s_mul_i32 s2, s36, s2
	s_mov_b32 s3, 0
	s_cselect_b32 s31, -1, 0
	s_cmp_lg_u64 s[16:17], s[18:19]
	s_mov_b32 s35, s3
	s_cselect_b32 s34, -1, 0
	s_lshl_b64 s[22:23], s[2:3], 2
	s_lshl_b64 s[24:25], s[2:3], 1
	s_branch .LBB6_6
.LBB6_5:                                ;   in Loop: Header=BB6_6 Depth=1
	v_add_nc_u64_e32 v[0:1], s[2:3], v[0:1]
	v_add_nc_u64_e32 v[4:5], s[22:23], v[4:5]
	s_wait_xcnt 0x0
	v_add_nc_u64_e32 v[6:7], s[24:25], v[6:7]
	s_delay_alu instid0(VALU_DEP_3) | instskip(SKIP_1) | instid1(SALU_CYCLE_1)
	v_cmp_le_u64_e32 vcc_lo, s[28:29], v[0:1]
	s_or_b32 s35, vcc_lo, s35
	s_and_not1_b32 exec_lo, exec_lo, s35
	s_cbranch_execz .LBB6_14
.LBB6_6:                                ; =>This Inner Loop Header: Depth=1
	v_add_nc_u64_e32 v[8:9], s[4:5], v[4:5]
	s_and_not1_b32 vcc_lo, exec_lo, s27
	s_cbranch_vccnz .LBB6_8
; %bb.7:                                ;   in Loop: Header=BB6_6 Depth=1
	global_load_b32 v12, v[8:9], off
	v_add_nc_u64_e32 v[10:11], s[6:7], v[4:5]
	s_wait_loadcnt 0x0
	global_store_b32 v[10:11], v12, off
.LBB6_8:                                ;   in Loop: Header=BB6_6 Depth=1
	s_and_not1_b32 vcc_lo, exec_lo, s30
	s_cbranch_vccnz .LBB6_10
; %bb.9:                                ;   in Loop: Header=BB6_6 Depth=1
	global_load_b32 v8, v[8:9], off
	s_wait_loadcnt 0x0
	s_wait_xcnt 0x0
	v_cvt_f16_f32_e32 v8, v8
	global_store_b16 v[6:7], v8, off
.LBB6_10:                               ;   in Loop: Header=BB6_6 Depth=1
	s_and_not1_b32 vcc_lo, exec_lo, s31
	s_cbranch_vccnz .LBB6_12
; %bb.11:                               ;   in Loop: Header=BB6_6 Depth=1
	s_wait_xcnt 0x0
	v_add_nc_u64_e32 v[8:9], s[12:13], v[4:5]
	global_load_b32 v10, v[8:9], off
	s_wait_xcnt 0x0
	v_add_nc_u64_e32 v[8:9], s[14:15], v[4:5]
	s_wait_loadcnt 0x0
	global_store_b32 v[8:9], v10, off
.LBB6_12:                               ;   in Loop: Header=BB6_6 Depth=1
	s_and_not1_b32 vcc_lo, exec_lo, s34
	s_cbranch_vccnz .LBB6_5
; %bb.13:                               ;   in Loop: Header=BB6_6 Depth=1
	s_wait_xcnt 0x0
	v_add_nc_u64_e32 v[8:9], s[16:17], v[4:5]
	global_load_b32 v10, v[8:9], off
	s_wait_xcnt 0x0
	v_add_nc_u64_e32 v[8:9], s[18:19], v[4:5]
	s_wait_loadcnt 0x0
	global_store_b32 v[8:9], v10, off
	s_branch .LBB6_5
.LBB6_14:
	s_or_b32 exec_lo, exec_lo, s26
	s_mov_b32 s25, 0
.LBB6_15:
	s_delay_alu instid0(SALU_CYCLE_1)
	s_and_b32 vcc_lo, exec_lo, s25
	s_cbranch_vccz .LBB6_25
.LBB6_16:
	s_load_b64 s[30:31], s[0:1], 0x50
	s_cmp_eq_u64 s[20:21], 0
	v_mov_b32_e32 v12, 1.0
	s_cselect_b32 s2, -1, 0
	s_delay_alu instid0(SALU_CYCLE_1)
	s_and_b32 vcc_lo, exec_lo, s2
	s_cbranch_vccnz .LBB6_18
; %bb.17:
	v_mov_b32_e32 v0, 0
	global_load_b32 v0, v0, s[20:21]
	s_wait_loadcnt 0x0
	v_cvt_f32_i32_e32 v12, v0
.LBB6_18:
	s_clause 0x1
	s_load_b96 s[24:26], s[0:1], 0x68
	s_load_b128 s[20:23], s[0:1], 0x58
	s_mov_b32 s27, 0
	s_wait_kmcnt 0x0
	s_bitcmp1_b32 s26, 0
	s_cselect_b32 s0, -1, 0
	s_cmp_lt_f32 s25, 0
	s_cselect_b32 s1, -1, 0
	s_delay_alu instid0(SALU_CYCLE_1)
	s_and_b32 s3, s1, exec_lo
	s_cselect_b32 s3, s20, s25
	s_and_b32 s0, s1, s0
	v_mov_b32_e32 v10, s3
	s_and_not1_b32 vcc_lo, exec_lo, s0
	s_cbranch_vccnz .LBB6_20
; %bb.19:
	s_cmp_neq_f32 s22, 1.0
	s_mov_b64 s[34:35], 0x3fe5555555555555
	s_cselect_b32 vcc_lo, -1, 0
	v_mov_b32_e32 v0, 0
	global_load_b32 v0, v0, s[30:31]
	s_wait_xcnt 0x0
	s_mov_b64 s[30:31], 0x3fe62e42fefa39ef
	s_wait_loadcnt 0x0
	v_add_nc_u32_e32 v0, 1, v0
	s_delay_alu instid0(VALU_DEP_1) | instskip(SKIP_1) | instid1(VALU_DEP_2)
	v_cvt_f64_u32_e32 v[4:5], v0
	v_cvt_f64_f32_e32 v[0:1], s22
	v_cndmask_b32_e32 v11, 0x3ff00000, v5, vcc_lo
	s_delay_alu instid0(VALU_DEP_3) | instskip(NEXT) | instid1(VALU_DEP_1)
	v_cndmask_b32_e32 v10, 0, v4, vcc_lo
	v_cmp_neq_f64_e32 vcc_lo, 0, v[10:11]
	s_delay_alu instid0(VALU_DEP_4) | instskip(SKIP_1) | instid1(VALU_DEP_1)
	v_cndmask_b32_e32 v9, 0x3ff00000, v1, vcc_lo
	v_cndmask_b32_e32 v8, 0, v0, vcc_lo
	v_frexp_mant_f64_e64 v[0:1], |v[8:9]|
	s_delay_alu instid0(VALU_DEP_1) | instskip(SKIP_1) | instid1(VALU_DEP_1)
	v_cmp_gt_f64_e32 vcc_lo, s[34:35], v[0:1]
	v_cndmask_b32_e64 v6, 0, 1, vcc_lo
	v_ldexp_f64 v[0:1], v[0:1], v6
	s_delay_alu instid0(VALU_DEP_1) | instskip(SKIP_1) | instid1(VALU_DEP_2)
	v_add_f64_e32 v[6:7], 1.0, v[0:1]
	v_add_f64_e32 v[18:19], -1.0, v[0:1]
	v_rcp_f64_e32 v[14:15], v[6:7]
	v_add_f64_e32 v[20:21], -1.0, v[6:7]
	v_frexp_exp_i32_f64_e32 v13, v[8:9]
	v_cmp_class_f64_e64 s3, v[8:9], 0x204
	s_delay_alu instid0(VALU_DEP_3) | instskip(NEXT) | instid1(VALU_DEP_3)
	v_add_f64_e64 v[0:1], v[0:1], -v[20:21]
	v_subrev_co_ci_u32_e64 v13, null, 0, v13, vcc_lo
	s_delay_alu instid0(TRANS32_DEP_1) | instskip(NEXT) | instid1(VALU_DEP_1)
	v_fma_f64 v[16:17], -v[6:7], v[14:15], 1.0
	v_fmac_f64_e32 v[14:15], v[16:17], v[14:15]
	s_delay_alu instid0(VALU_DEP_1) | instskip(NEXT) | instid1(VALU_DEP_1)
	v_fma_f64 v[16:17], -v[6:7], v[14:15], 1.0
	v_fmac_f64_e32 v[14:15], v[16:17], v[14:15]
	s_delay_alu instid0(VALU_DEP_1) | instskip(NEXT) | instid1(VALU_DEP_1)
	v_mul_f64_e32 v[16:17], v[18:19], v[14:15]
	v_mul_f64_e32 v[22:23], v[6:7], v[16:17]
	s_delay_alu instid0(VALU_DEP_1) | instskip(NEXT) | instid1(VALU_DEP_1)
	v_fma_f64 v[6:7], v[16:17], v[6:7], -v[22:23]
	v_fmac_f64_e32 v[6:7], v[16:17], v[0:1]
	s_delay_alu instid0(VALU_DEP_1) | instskip(NEXT) | instid1(VALU_DEP_1)
	v_add_f64_e32 v[0:1], v[22:23], v[6:7]
	v_add_f64_e64 v[20:21], v[18:19], -v[0:1]
	v_add_f64_e64 v[22:23], v[0:1], -v[22:23]
	s_delay_alu instid0(VALU_DEP_2) | instskip(NEXT) | instid1(VALU_DEP_2)
	v_add_f64_e64 v[18:19], v[18:19], -v[20:21]
	v_add_f64_e64 v[6:7], v[22:23], -v[6:7]
	s_delay_alu instid0(VALU_DEP_2) | instskip(NEXT) | instid1(VALU_DEP_1)
	v_add_f64_e64 v[0:1], v[18:19], -v[0:1]
	v_add_f64_e32 v[0:1], v[6:7], v[0:1]
	s_delay_alu instid0(VALU_DEP_1) | instskip(NEXT) | instid1(VALU_DEP_1)
	v_add_f64_e32 v[0:1], v[20:21], v[0:1]
	v_mul_f64_e32 v[0:1], v[14:15], v[0:1]
	s_delay_alu instid0(VALU_DEP_1) | instskip(NEXT) | instid1(VALU_DEP_1)
	v_add_f64_e32 v[14:15], v[16:17], v[0:1]
	v_add_f64_e64 v[6:7], v[14:15], -v[16:17]
	v_mul_f64_e32 v[16:17], v[14:15], v[14:15]
	s_delay_alu instid0(VALU_DEP_2) | instskip(NEXT) | instid1(VALU_DEP_2)
	v_add_f64_e64 v[0:1], v[0:1], -v[6:7]
	v_fma_f64 v[18:19], v[14:15], v[14:15], -v[16:17]
	s_delay_alu instid0(VALU_DEP_2) | instskip(NEXT) | instid1(VALU_DEP_1)
	v_add_f64_e32 v[6:7], v[0:1], v[0:1]
	v_fmac_f64_e32 v[18:19], v[14:15], v[6:7]
	v_mov_b64_e32 v[6:7], 0x3fba6564968915a9
	s_delay_alu instid0(VALU_DEP_2) | instskip(NEXT) | instid1(VALU_DEP_1)
	v_add_f64_e32 v[20:21], v[16:17], v[18:19]
	v_fmamk_f64 v[22:23], v[20:21], 0x3fbdee674222de17, v[6:7]
	v_add_f64_e64 v[16:17], v[20:21], -v[16:17]
	v_mul_f64_e32 v[28:29], v[14:15], v[20:21]
	s_delay_alu instid0(VALU_DEP_3) | instskip(NEXT) | instid1(VALU_DEP_1)
	v_fmaak_f64 v[22:23], v[20:21], v[22:23], 0x3fbe25e43abe935a
	v_fmaak_f64 v[22:23], v[20:21], v[22:23], 0x3fc110ef47e6c9c2
	s_delay_alu instid0(VALU_DEP_1) | instskip(NEXT) | instid1(VALU_DEP_1)
	v_fmaak_f64 v[22:23], v[20:21], v[22:23], 0x3fc3b13bcfa74449
	v_fmaak_f64 v[22:23], v[20:21], v[22:23], 0x3fc745d171bf3c30
	v_add_f64_e64 v[16:17], v[18:19], -v[16:17]
	s_delay_alu instid0(VALU_DEP_2) | instskip(NEXT) | instid1(VALU_DEP_1)
	v_fmaak_f64 v[22:23], v[20:21], v[22:23], 0x3fcc71c71c7792ce
	v_fmaak_f64 v[22:23], v[20:21], v[22:23], 0x3fd24924924920da
	s_delay_alu instid0(VALU_DEP_1) | instskip(NEXT) | instid1(VALU_DEP_1)
	v_fmaak_f64 v[22:23], v[20:21], v[22:23], 0x3fd999999999999c
	v_mul_f64_e32 v[24:25], v[20:21], v[22:23]
	s_delay_alu instid0(VALU_DEP_1) | instskip(NEXT) | instid1(VALU_DEP_1)
	v_fma_f64 v[18:19], v[20:21], v[22:23], -v[24:25]
	v_fmac_f64_e32 v[18:19], v[16:17], v[22:23]
	s_delay_alu instid0(VALU_DEP_1) | instskip(NEXT) | instid1(VALU_DEP_1)
	v_add_f64_e32 v[22:23], v[24:25], v[18:19]
	v_add_f64_e32 v[26:27], 0x3fe5555555555555, v[22:23]
	v_add_f64_e64 v[24:25], v[22:23], -v[24:25]
	s_delay_alu instid0(VALU_DEP_2) | instskip(NEXT) | instid1(VALU_DEP_2)
	v_add_f64_e32 v[30:31], 0xbfe5555555555555, v[26:27]
	v_add_f64_e64 v[18:19], v[18:19], -v[24:25]
	v_fma_f64 v[24:25], v[20:21], v[14:15], -v[28:29]
	s_delay_alu instid0(VALU_DEP_3) | instskip(NEXT) | instid1(VALU_DEP_3)
	v_add_f64_e64 v[22:23], v[22:23], -v[30:31]
	v_add_f64_e32 v[18:19], 0x3c8543b0d5df274d, v[18:19]
	s_delay_alu instid0(VALU_DEP_3) | instskip(SKIP_1) | instid1(VALU_DEP_3)
	v_fmac_f64_e32 v[24:25], v[20:21], v[0:1]
	v_ldexp_f64 v[0:1], v[0:1], 1
	v_add_f64_e32 v[18:19], v[18:19], v[22:23]
	s_delay_alu instid0(VALU_DEP_3) | instskip(SKIP_1) | instid1(VALU_DEP_3)
	v_fmac_f64_e32 v[24:25], v[16:17], v[14:15]
	v_ldexp_f64 v[14:15], v[14:15], 1
	v_add_f64_e32 v[16:17], v[26:27], v[18:19]
	s_delay_alu instid0(VALU_DEP_3) | instskip(NEXT) | instid1(VALU_DEP_2)
	v_add_f64_e32 v[20:21], v[28:29], v[24:25]
	v_add_f64_e64 v[22:23], v[26:27], -v[16:17]
	s_delay_alu instid0(VALU_DEP_2) | instskip(SKIP_1) | instid1(VALU_DEP_3)
	v_mul_f64_e32 v[26:27], v[20:21], v[16:17]
	v_add_f64_e64 v[28:29], v[20:21], -v[28:29]
	v_add_f64_e32 v[18:19], v[18:19], v[22:23]
	s_delay_alu instid0(VALU_DEP_3) | instskip(NEXT) | instid1(VALU_DEP_3)
	v_fma_f64 v[22:23], v[20:21], v[16:17], -v[26:27]
	v_add_f64_e64 v[24:25], v[24:25], -v[28:29]
	s_delay_alu instid0(VALU_DEP_2) | instskip(SKIP_1) | instid1(VALU_DEP_2)
	v_fmac_f64_e32 v[22:23], v[20:21], v[18:19]
	v_cvt_f64_i32_e32 v[18:19], v13
	v_fmac_f64_e32 v[22:23], v[24:25], v[16:17]
	s_delay_alu instid0(VALU_DEP_1) | instskip(NEXT) | instid1(VALU_DEP_1)
	v_add_f64_e32 v[16:17], v[26:27], v[22:23]
	v_add_f64_e32 v[20:21], v[14:15], v[16:17]
	v_add_f64_e64 v[24:25], v[16:17], -v[26:27]
	v_mul_f64_e32 v[26:27], 0x3fe62e42fefa39ef, v[18:19]
	s_delay_alu instid0(VALU_DEP_3) | instskip(NEXT) | instid1(VALU_DEP_3)
	v_add_f64_e64 v[14:15], v[20:21], -v[14:15]
	v_add_f64_e64 v[22:23], v[22:23], -v[24:25]
	s_delay_alu instid0(VALU_DEP_3) | instskip(NEXT) | instid1(VALU_DEP_3)
	v_fma_f64 v[24:25], v[18:19], s[30:31], -v[26:27]
	v_add_f64_e64 v[14:15], v[16:17], -v[14:15]
	s_delay_alu instid0(VALU_DEP_3) | instskip(NEXT) | instid1(VALU_DEP_3)
	v_add_f64_e32 v[0:1], v[0:1], v[22:23]
	v_fmac_f64_e32 v[24:25], 0x3c7abc9e3b39803f, v[18:19]
	s_delay_alu instid0(VALU_DEP_2) | instskip(NEXT) | instid1(VALU_DEP_2)
	v_add_f64_e32 v[0:1], v[0:1], v[14:15]
	v_add_f64_e32 v[14:15], v[26:27], v[24:25]
	s_delay_alu instid0(VALU_DEP_2) | instskip(NEXT) | instid1(VALU_DEP_2)
	v_add_f64_e32 v[16:17], v[20:21], v[0:1]
	v_add_f64_e64 v[26:27], v[14:15], -v[26:27]
	s_delay_alu instid0(VALU_DEP_2) | instskip(SKIP_1) | instid1(VALU_DEP_3)
	v_add_f64_e32 v[18:19], v[14:15], v[16:17]
	v_add_f64_e64 v[20:21], v[16:17], -v[20:21]
	v_add_f64_e64 v[24:25], v[24:25], -v[26:27]
	s_delay_alu instid0(VALU_DEP_3) | instskip(NEXT) | instid1(VALU_DEP_3)
	v_add_f64_e64 v[22:23], v[18:19], -v[14:15]
	v_add_f64_e64 v[0:1], v[0:1], -v[20:21]
	s_delay_alu instid0(VALU_DEP_2) | instskip(SKIP_1) | instid1(VALU_DEP_3)
	v_add_f64_e64 v[28:29], v[18:19], -v[22:23]
	v_add_f64_e64 v[16:17], v[16:17], -v[22:23]
	v_add_f64_e32 v[20:21], v[24:25], v[0:1]
	s_delay_alu instid0(VALU_DEP_3) | instskip(NEXT) | instid1(VALU_DEP_1)
	v_add_f64_e64 v[14:15], v[14:15], -v[28:29]
	v_add_f64_e32 v[14:15], v[16:17], v[14:15]
	s_delay_alu instid0(VALU_DEP_3) | instskip(NEXT) | instid1(VALU_DEP_2)
	v_add_f64_e64 v[16:17], v[20:21], -v[24:25]
	v_add_f64_e32 v[14:15], v[20:21], v[14:15]
	s_delay_alu instid0(VALU_DEP_2) | instskip(SKIP_1) | instid1(VALU_DEP_3)
	v_add_f64_e64 v[20:21], v[20:21], -v[16:17]
	v_add_f64_e64 v[0:1], v[0:1], -v[16:17]
	v_add_f64_e32 v[22:23], v[18:19], v[14:15]
	s_delay_alu instid0(VALU_DEP_3) | instskip(NEXT) | instid1(VALU_DEP_2)
	v_add_f64_e64 v[16:17], v[24:25], -v[20:21]
	v_add_f64_e64 v[18:19], v[22:23], -v[18:19]
	s_delay_alu instid0(VALU_DEP_2) | instskip(NEXT) | instid1(VALU_DEP_2)
	v_add_f64_e32 v[0:1], v[0:1], v[16:17]
	v_add_f64_e64 v[14:15], v[14:15], -v[18:19]
	s_delay_alu instid0(VALU_DEP_1) | instskip(NEXT) | instid1(VALU_DEP_1)
	v_add_f64_e32 v[0:1], v[0:1], v[14:15]
	v_add_f64_e32 v[14:15], v[22:23], v[0:1]
	s_delay_alu instid0(VALU_DEP_1) | instskip(SKIP_1) | instid1(VALU_DEP_2)
	v_add_f64_e64 v[16:17], v[14:15], -v[22:23]
	v_mul_f64_e32 v[18:19], v[10:11], v[14:15]
	v_add_f64_e64 v[0:1], v[0:1], -v[16:17]
	s_delay_alu instid0(VALU_DEP_2) | instskip(SKIP_1) | instid1(VALU_DEP_2)
	v_fma_f64 v[14:15], v[10:11], v[14:15], -v[18:19]
	v_cmp_class_f64_e64 vcc_lo, v[18:19], 0x204
	v_fmac_f64_e32 v[14:15], v[10:11], v[0:1]
	s_delay_alu instid0(VALU_DEP_1) | instskip(NEXT) | instid1(VALU_DEP_1)
	v_add_f64_e32 v[16:17], v[18:19], v[14:15]
	v_dual_cndmask_b32 v21, v17, v19 :: v_dual_cndmask_b32 v20, v16, v18
	v_add_f64_e64 v[16:17], v[16:17], -v[18:19]
	s_delay_alu instid0(VALU_DEP_2)
	v_mul_f64_e32 v[0:1], 0x3ff71547652b82fe, v[20:21]
	v_cmp_nlt_f64_e64 s0, 0x40900000, v[20:21]
	v_cmp_neq_f64_e64 vcc_lo, 0x7ff00000, |v[20:21]|
	v_cmp_ngt_f64_e64 s1, 0xc090cc00, v[20:21]
	v_add_f64_e64 v[14:15], v[14:15], -v[16:17]
	v_mul_f64_e32 v[16:17], 0.5, v[10:11]
	v_rndne_f64_e32 v[22:23], v[0:1]
	v_mov_b64_e32 v[0:1], 0x3e928af3fca7ab0c
	s_delay_alu instid0(VALU_DEP_4) | instskip(SKIP_1) | instid1(VALU_DEP_3)
	v_dual_cndmask_b32 v15, 0, v15 :: v_dual_cndmask_b32 v14, 0, v14
	s_and_b32 vcc_lo, s1, s0
	v_fmamk_f64 v[24:25], v[22:23], 0xbfe62e42fefa39ef, v[20:21]
	v_cvt_i32_f64_e32 v13, v[22:23]
	v_trunc_f64_e32 v[20:21], v[16:17]
	s_delay_alu instid0(VALU_DEP_3) | instskip(NEXT) | instid1(VALU_DEP_1)
	v_fmac_f64_e32 v[24:25], 0xbc7abc9e3b39803f, v[22:23]
	v_fmamk_f64 v[26:27], v[24:25], 0x3e5ade156a5dcb37, v[0:1]
	s_delay_alu instid0(VALU_DEP_1) | instskip(NEXT) | instid1(VALU_DEP_1)
	v_fmaak_f64 v[26:27], v[24:25], v[26:27], 0x3ec71dee623fde64
	v_fmaak_f64 v[26:27], v[24:25], v[26:27], 0x3efa01997c89e6b0
	s_delay_alu instid0(VALU_DEP_1) | instskip(NEXT) | instid1(VALU_DEP_1)
	v_fmaak_f64 v[26:27], v[24:25], v[26:27], 0x3f2a01a014761f6e
	v_fmaak_f64 v[26:27], v[24:25], v[26:27], 0x3f56c16c1852b7b0
	;; [unrolled: 3-line block ×4, first 2 shown]
	s_delay_alu instid0(VALU_DEP_1) | instskip(NEXT) | instid1(VALU_DEP_1)
	v_fma_f64 v[26:27], v[24:25], v[26:27], 1.0
	v_fma_f64 v[22:23], v[24:25], v[26:27], 1.0
	s_delay_alu instid0(VALU_DEP_1) | instskip(SKIP_1) | instid1(VALU_DEP_2)
	v_ldexp_f64 v[18:19], v[22:23], v13
	v_trunc_f64_e32 v[22:23], v[10:11]
	v_cndmask_b32_e64 v13, 0x7ff00000, v19, s0
	s_delay_alu instid0(VALU_DEP_3) | instskip(SKIP_1) | instid1(VALU_DEP_3)
	v_cndmask_b32_e32 v18, 0, v18, vcc_lo
	v_cmp_neq_f64_e32 vcc_lo, v[20:21], v[16:17]
	v_cndmask_b32_e64 v19, 0, v13, s1
	v_cmp_eq_f64_e64 s1, v[22:23], v[10:11]
	s_delay_alu instid0(VALU_DEP_2)
	v_fma_f64 v[14:15], v[18:19], v[14:15], v[18:19]
	v_cmp_class_f64_e64 s0, v[18:19], 0x204
	s_and_b32 vcc_lo, s1, vcc_lo
	v_dual_cndmask_b32 v13, v14, v18, s0 :: v_dual_cndmask_b32 v10, v15, v19, s0
	v_cndmask_b32_e32 v14, 0x3ff00000, v9, vcc_lo
	v_cmp_gt_f64_e64 s0, 0, v[8:9]
	v_cndmask_b32_e32 v15, 0, v9, vcc_lo
	s_delay_alu instid0(VALU_DEP_4) | instskip(NEXT) | instid1(VALU_DEP_4)
	v_cndmask_b32_e64 v11, 0, v13, s1
	v_bfi_b32 v10, 0x7fffffff, v10, v14
	s_delay_alu instid0(VALU_DEP_1) | instskip(SKIP_1) | instid1(VALU_DEP_2)
	v_cndmask_b32_e64 v14, 0x7ff80000, v10, s1
	v_cmp_eq_f64_e64 s1, 0, v[8:9]
	v_dual_cndmask_b32 v14, v10, v14, s0 :: v_dual_cndmask_b32 v10, v13, v11, s0
	s_or_b32 vcc_lo, s1, s3
	s_and_b32 s0, s1, exec_lo
	s_cselect_b32 s0, 0, 0x7ff00000
	s_delay_alu instid0(VALU_DEP_1) | instskip(SKIP_1) | instid1(VALU_DEP_1)
	v_cndmask_b32_e64 v10, v10, 0, vcc_lo
	v_bfi_b32 v11, 0x7fffffff, s0, v15
	v_cndmask_b32_e32 v11, v14, v11, vcc_lo
	v_cmp_o_f64_e32 vcc_lo, v[8:9], v[8:9]
	s_delay_alu instid0(VALU_DEP_2) | instskip(NEXT) | instid1(VALU_DEP_1)
	v_add_f64_e64 v[10:11], -v[10:11], 1.0
	v_cndmask_b32_e32 v9, 0x7ff80000, v11, vcc_lo
	s_delay_alu instid0(VALU_DEP_2) | instskip(NEXT) | instid1(VALU_DEP_1)
	v_cndmask_b32_e32 v8, 0, v10, vcc_lo
	v_cvt_f32_f64_e32 v10, v[8:9]
	s_delay_alu instid0(VALU_DEP_1) | instskip(SKIP_2) | instid1(SALU_CYCLE_2)
	v_readfirstlane_b32 s0, v10
	s_mul_f32 s1, s0, 0x4f800000
	s_cmp_lt_f32 s0, 0xf800000
	s_cselect_b32 s3, s1, s0
	s_delay_alu instid0(SALU_CYCLE_1) | instskip(SKIP_1) | instid1(TRANS32_DEP_1)
	v_s_sqrt_f32 s0, s3
	s_mov_b32 s25, s3
	s_add_co_i32 s1, s0, -1
	s_delay_alu instid0(SALU_CYCLE_1) | instskip(NEXT) | instid1(SALU_CYCLE_1)
	s_xor_b32 s26, s1, 0x80000000
	s_fmac_f32 s25, s26, s0
	s_mov_b32 s26, s3
	s_delay_alu instid0(SALU_CYCLE_2) | instskip(SKIP_2) | instid1(SALU_CYCLE_1)
	s_cmp_le_f32 s25, 0
	s_cselect_b32 s1, s1, s0
	s_add_co_i32 s25, s0, 1
	s_xor_b32 s37, s25, 0x80000000
	s_delay_alu instid0(SALU_CYCLE_1) | instskip(NEXT) | instid1(SALU_CYCLE_3)
	s_fmac_f32 s26, s37, s0
	s_cmp_gt_f32 s26, 0
	s_cselect_b32 s25, s25, s1
	s_cmp_neq_f32 s21, 1.0
	s_cselect_b32 vcc_lo, -1, 0
	v_cndmask_b32_e32 v9, 0x3ff00000, v5, vcc_lo
	v_cndmask_b32_e32 v8, 0, v4, vcc_lo
	v_cvt_f64_f32_e32 v[4:5], s21
	s_delay_alu instid0(VALU_DEP_2) | instskip(NEXT) | instid1(VALU_DEP_2)
	v_cmp_neq_f64_e32 vcc_lo, 0, v[8:9]
	v_cndmask_b32_e32 v5, 0x3ff00000, v5, vcc_lo
	s_delay_alu instid0(VALU_DEP_3) | instskip(NEXT) | instid1(VALU_DEP_1)
	v_cndmask_b32_e32 v4, 0, v4, vcc_lo
	v_frexp_mant_f64_e64 v[14:15], |v[4:5]|
	v_cmp_class_f64_e64 s26, v[4:5], 0x204
	s_delay_alu instid0(VALU_DEP_2) | instskip(SKIP_1) | instid1(VALU_DEP_1)
	v_cmp_gt_f64_e32 vcc_lo, s[34:35], v[14:15]
	v_cndmask_b32_e64 v11, 0, 1, vcc_lo
	v_ldexp_f64 v[14:15], v[14:15], v11
	v_frexp_exp_i32_f64_e32 v11, v[4:5]
	s_delay_alu instid0(VALU_DEP_2) | instskip(SKIP_1) | instid1(VALU_DEP_3)
	v_add_f64_e32 v[16:17], 1.0, v[14:15]
	v_add_f64_e32 v[22:23], -1.0, v[14:15]
	v_subrev_co_ci_u32_e64 v11, null, 0, v11, vcc_lo
	s_delay_alu instid0(VALU_DEP_3) | instskip(SKIP_1) | instid1(VALU_DEP_1)
	v_rcp_f64_e32 v[18:19], v[16:17]
	v_add_f64_e32 v[24:25], -1.0, v[16:17]
	v_add_f64_e64 v[14:15], v[14:15], -v[24:25]
	s_delay_alu instid0(TRANS32_DEP_1) | instskip(NEXT) | instid1(VALU_DEP_1)
	v_fma_f64 v[20:21], -v[16:17], v[18:19], 1.0
	v_fmac_f64_e32 v[18:19], v[20:21], v[18:19]
	s_delay_alu instid0(VALU_DEP_1) | instskip(NEXT) | instid1(VALU_DEP_1)
	v_fma_f64 v[20:21], -v[16:17], v[18:19], 1.0
	v_fmac_f64_e32 v[18:19], v[20:21], v[18:19]
	s_delay_alu instid0(VALU_DEP_1) | instskip(NEXT) | instid1(VALU_DEP_1)
	v_mul_f64_e32 v[20:21], v[22:23], v[18:19]
	v_mul_f64_e32 v[26:27], v[16:17], v[20:21]
	s_delay_alu instid0(VALU_DEP_1) | instskip(NEXT) | instid1(VALU_DEP_1)
	v_fma_f64 v[16:17], v[20:21], v[16:17], -v[26:27]
	v_fmac_f64_e32 v[16:17], v[20:21], v[14:15]
	s_delay_alu instid0(VALU_DEP_1) | instskip(NEXT) | instid1(VALU_DEP_1)
	v_add_f64_e32 v[14:15], v[26:27], v[16:17]
	v_add_f64_e64 v[24:25], v[22:23], -v[14:15]
	v_add_f64_e64 v[26:27], v[14:15], -v[26:27]
	s_delay_alu instid0(VALU_DEP_2) | instskip(NEXT) | instid1(VALU_DEP_2)
	v_add_f64_e64 v[22:23], v[22:23], -v[24:25]
	v_add_f64_e64 v[16:17], v[26:27], -v[16:17]
	s_delay_alu instid0(VALU_DEP_2) | instskip(NEXT) | instid1(VALU_DEP_1)
	v_add_f64_e64 v[14:15], v[22:23], -v[14:15]
	v_add_f64_e32 v[14:15], v[16:17], v[14:15]
	s_delay_alu instid0(VALU_DEP_1) | instskip(SKIP_1) | instid1(VALU_DEP_2)
	v_add_f64_e32 v[14:15], v[24:25], v[14:15]
	v_mov_b64_e32 v[24:25], 0x3fbe25e43abe935a
	v_mul_f64_e32 v[14:15], v[18:19], v[14:15]
	s_delay_alu instid0(VALU_DEP_1) | instskip(NEXT) | instid1(VALU_DEP_1)
	v_add_f64_e32 v[16:17], v[20:21], v[14:15]
	v_add_f64_e64 v[18:19], v[16:17], -v[20:21]
	v_mul_f64_e32 v[20:21], v[16:17], v[16:17]
	s_delay_alu instid0(VALU_DEP_2) | instskip(NEXT) | instid1(VALU_DEP_2)
	v_add_f64_e64 v[14:15], v[14:15], -v[18:19]
	v_fma_f64 v[18:19], v[16:17], v[16:17], -v[20:21]
	s_delay_alu instid0(VALU_DEP_2) | instskip(NEXT) | instid1(VALU_DEP_1)
	v_add_f64_e32 v[22:23], v[14:15], v[14:15]
	v_fmac_f64_e32 v[18:19], v[16:17], v[22:23]
	s_delay_alu instid0(VALU_DEP_1) | instskip(NEXT) | instid1(VALU_DEP_1)
	v_add_f64_e32 v[22:23], v[20:21], v[18:19]
	v_fmac_f64_e32 v[6:7], 0x3fbdee674222de17, v[22:23]
	v_mul_f64_e32 v[28:29], v[16:17], v[22:23]
	s_delay_alu instid0(VALU_DEP_2) | instskip(SKIP_1) | instid1(VALU_DEP_1)
	v_fmac_f64_e32 v[24:25], v[22:23], v[6:7]
	v_mov_b64_e32 v[6:7], 0x3fc110ef47e6c9c2
	v_fmac_f64_e32 v[6:7], v[22:23], v[24:25]
	v_mov_b64_e32 v[24:25], 0x3fc3b13bcfa74449
	s_delay_alu instid0(VALU_DEP_1) | instskip(SKIP_1) | instid1(VALU_DEP_1)
	v_fmac_f64_e32 v[24:25], v[22:23], v[6:7]
	v_mov_b64_e32 v[6:7], 0x3fc745d171bf3c30
	v_fmac_f64_e32 v[6:7], v[22:23], v[24:25]
	v_mov_b64_e32 v[24:25], 0x3fcc71c71c7792ce
	s_delay_alu instid0(VALU_DEP_1) | instskip(SKIP_1) | instid1(VALU_DEP_1)
	v_fmac_f64_e32 v[24:25], v[22:23], v[6:7]
	v_mov_b64_e32 v[6:7], 0x3fd24924924920da
	v_fmac_f64_e32 v[6:7], v[22:23], v[24:25]
	v_mov_b64_e32 v[24:25], 0x3fd999999999999c
	s_delay_alu instid0(VALU_DEP_1) | instskip(SKIP_1) | instid1(VALU_DEP_2)
	v_fmac_f64_e32 v[24:25], v[22:23], v[6:7]
	v_add_f64_e64 v[6:7], v[22:23], -v[20:21]
	v_mul_f64_e32 v[20:21], v[22:23], v[24:25]
	s_delay_alu instid0(VALU_DEP_2) | instskip(NEXT) | instid1(VALU_DEP_2)
	v_add_f64_e64 v[6:7], v[18:19], -v[6:7]
	v_fma_f64 v[18:19], v[22:23], v[24:25], -v[20:21]
	s_delay_alu instid0(VALU_DEP_1) | instskip(NEXT) | instid1(VALU_DEP_1)
	v_fmac_f64_e32 v[18:19], v[6:7], v[24:25]
	v_add_f64_e32 v[24:25], v[20:21], v[18:19]
	s_delay_alu instid0(VALU_DEP_1) | instskip(SKIP_1) | instid1(VALU_DEP_2)
	v_add_f64_e32 v[26:27], 0x3fe5555555555555, v[24:25]
	v_add_f64_e64 v[20:21], v[24:25], -v[20:21]
	v_add_f64_e32 v[30:31], 0xbfe5555555555555, v[26:27]
	s_delay_alu instid0(VALU_DEP_2) | instskip(SKIP_1) | instid1(VALU_DEP_3)
	v_add_f64_e64 v[18:19], v[18:19], -v[20:21]
	v_fma_f64 v[20:21], v[22:23], v[16:17], -v[28:29]
	v_add_f64_e64 v[24:25], v[24:25], -v[30:31]
	s_delay_alu instid0(VALU_DEP_3) | instskip(NEXT) | instid1(VALU_DEP_3)
	v_add_f64_e32 v[18:19], 0x3c8543b0d5df274d, v[18:19]
	v_fmac_f64_e32 v[20:21], v[22:23], v[14:15]
	v_ldexp_f64 v[14:15], v[14:15], 1
	s_delay_alu instid0(VALU_DEP_3) | instskip(NEXT) | instid1(VALU_DEP_3)
	v_add_f64_e32 v[18:19], v[18:19], v[24:25]
	v_fmac_f64_e32 v[20:21], v[6:7], v[16:17]
	s_delay_alu instid0(VALU_DEP_2) | instskip(NEXT) | instid1(VALU_DEP_2)
	v_add_f64_e32 v[6:7], v[26:27], v[18:19]
	v_add_f64_e32 v[22:23], v[28:29], v[20:21]
	s_delay_alu instid0(VALU_DEP_2) | instskip(NEXT) | instid1(VALU_DEP_2)
	v_add_f64_e64 v[24:25], v[26:27], -v[6:7]
	v_mul_f64_e32 v[26:27], v[22:23], v[6:7]
	v_add_f64_e64 v[28:29], v[22:23], -v[28:29]
	s_delay_alu instid0(VALU_DEP_3) | instskip(NEXT) | instid1(VALU_DEP_3)
	v_add_f64_e32 v[18:19], v[18:19], v[24:25]
	v_fma_f64 v[24:25], v[22:23], v[6:7], -v[26:27]
	s_delay_alu instid0(VALU_DEP_3) | instskip(NEXT) | instid1(VALU_DEP_2)
	v_add_f64_e64 v[20:21], v[20:21], -v[28:29]
	v_fmac_f64_e32 v[24:25], v[22:23], v[18:19]
	v_cvt_f64_i32_e32 v[18:19], v11
	s_delay_alu instid0(VALU_DEP_2) | instskip(SKIP_1) | instid1(VALU_DEP_2)
	v_fmac_f64_e32 v[24:25], v[20:21], v[6:7]
	v_ldexp_f64 v[6:7], v[16:17], 1
	v_add_f64_e32 v[16:17], v[26:27], v[24:25]
	s_delay_alu instid0(VALU_DEP_1) | instskip(SKIP_2) | instid1(VALU_DEP_3)
	v_add_f64_e32 v[20:21], v[6:7], v[16:17]
	v_add_f64_e64 v[22:23], v[16:17], -v[26:27]
	v_mul_f64_e32 v[26:27], 0x3fe62e42fefa39ef, v[18:19]
	v_add_f64_e64 v[6:7], v[20:21], -v[6:7]
	s_delay_alu instid0(VALU_DEP_3) | instskip(NEXT) | instid1(VALU_DEP_3)
	v_add_f64_e64 v[22:23], v[24:25], -v[22:23]
	v_fma_f64 v[24:25], v[18:19], s[30:31], -v[26:27]
	s_delay_alu instid0(VALU_DEP_3) | instskip(NEXT) | instid1(VALU_DEP_3)
	v_add_f64_e64 v[6:7], v[16:17], -v[6:7]
	v_add_f64_e32 v[14:15], v[14:15], v[22:23]
	s_delay_alu instid0(VALU_DEP_3) | instskip(NEXT) | instid1(VALU_DEP_2)
	v_fmac_f64_e32 v[24:25], 0x3c7abc9e3b39803f, v[18:19]
	v_add_f64_e32 v[6:7], v[14:15], v[6:7]
	s_delay_alu instid0(VALU_DEP_2) | instskip(NEXT) | instid1(VALU_DEP_2)
	v_add_f64_e32 v[14:15], v[26:27], v[24:25]
	v_add_f64_e32 v[16:17], v[20:21], v[6:7]
	s_delay_alu instid0(VALU_DEP_2) | instskip(NEXT) | instid1(VALU_DEP_2)
	v_add_f64_e64 v[26:27], v[14:15], -v[26:27]
	v_add_f64_e32 v[18:19], v[14:15], v[16:17]
	v_add_f64_e64 v[20:21], v[16:17], -v[20:21]
	s_delay_alu instid0(VALU_DEP_3) | instskip(NEXT) | instid1(VALU_DEP_3)
	v_add_f64_e64 v[24:25], v[24:25], -v[26:27]
	v_add_f64_e64 v[22:23], v[18:19], -v[14:15]
	s_delay_alu instid0(VALU_DEP_3) | instskip(NEXT) | instid1(VALU_DEP_2)
	v_add_f64_e64 v[6:7], v[6:7], -v[20:21]
	v_add_f64_e64 v[28:29], v[18:19], -v[22:23]
	;; [unrolled: 1-line block ×3, first 2 shown]
	s_delay_alu instid0(VALU_DEP_3) | instskip(NEXT) | instid1(VALU_DEP_3)
	v_add_f64_e32 v[20:21], v[24:25], v[6:7]
	v_add_f64_e64 v[14:15], v[14:15], -v[28:29]
	s_delay_alu instid0(VALU_DEP_1) | instskip(NEXT) | instid1(VALU_DEP_3)
	v_add_f64_e32 v[14:15], v[16:17], v[14:15]
	v_add_f64_e64 v[16:17], v[20:21], -v[24:25]
	s_delay_alu instid0(VALU_DEP_2) | instskip(NEXT) | instid1(VALU_DEP_2)
	v_add_f64_e32 v[14:15], v[20:21], v[14:15]
	v_add_f64_e64 v[20:21], v[20:21], -v[16:17]
	v_add_f64_e64 v[6:7], v[6:7], -v[16:17]
	s_delay_alu instid0(VALU_DEP_3) | instskip(NEXT) | instid1(VALU_DEP_3)
	v_add_f64_e32 v[22:23], v[18:19], v[14:15]
	v_add_f64_e64 v[16:17], v[24:25], -v[20:21]
	v_mov_b64_e32 v[24:25], 0x3ec71dee623fde64
	s_delay_alu instid0(VALU_DEP_3) | instskip(NEXT) | instid1(VALU_DEP_3)
	v_add_f64_e64 v[18:19], v[22:23], -v[18:19]
	v_add_f64_e32 v[6:7], v[6:7], v[16:17]
	s_delay_alu instid0(VALU_DEP_2) | instskip(NEXT) | instid1(VALU_DEP_1)
	v_add_f64_e64 v[14:15], v[14:15], -v[18:19]
	v_add_f64_e32 v[6:7], v[6:7], v[14:15]
	s_delay_alu instid0(VALU_DEP_1) | instskip(NEXT) | instid1(VALU_DEP_1)
	v_add_f64_e32 v[14:15], v[22:23], v[6:7]
	v_add_f64_e64 v[16:17], v[14:15], -v[22:23]
	v_mul_f64_e32 v[18:19], v[8:9], v[14:15]
	s_delay_alu instid0(VALU_DEP_2) | instskip(NEXT) | instid1(VALU_DEP_2)
	v_add_f64_e64 v[6:7], v[6:7], -v[16:17]
	v_fma_f64 v[14:15], v[8:9], v[14:15], -v[18:19]
	v_cmp_class_f64_e64 vcc_lo, v[18:19], 0x204
	s_delay_alu instid0(VALU_DEP_2) | instskip(NEXT) | instid1(VALU_DEP_1)
	v_fmac_f64_e32 v[14:15], v[8:9], v[6:7]
	v_add_f64_e32 v[6:7], v[18:19], v[14:15]
	s_delay_alu instid0(VALU_DEP_1) | instskip(SKIP_2) | instid1(VALU_DEP_3)
	v_dual_cndmask_b32 v17, v7, v19 :: v_dual_cndmask_b32 v16, v6, v18
	v_add_f64_e64 v[6:7], v[6:7], -v[18:19]
	v_trunc_f64_e32 v[18:19], v[8:9]
	v_mul_f64_e32 v[20:21], 0x3ff71547652b82fe, v[16:17]
	v_cmp_nlt_f64_e64 s0, 0x40900000, v[16:17]
	v_cmp_neq_f64_e64 vcc_lo, 0x7ff00000, |v[16:17]|
	v_cmp_ngt_f64_e64 s1, 0xc090cc00, v[16:17]
	v_add_f64_e64 v[6:7], v[14:15], -v[6:7]
	v_mul_f64_e32 v[14:15], 0.5, v[8:9]
	v_rndne_f64_e32 v[20:21], v[20:21]
	s_delay_alu instid0(VALU_DEP_3) | instskip(SKIP_1) | instid1(VALU_DEP_2)
	v_dual_cndmask_b32 v7, 0, v7 :: v_dual_cndmask_b32 v6, 0, v6
	s_and_b32 vcc_lo, s1, s0
	v_fmamk_f64 v[22:23], v[20:21], 0xbfe62e42fefa39ef, v[16:17]
	v_cvt_i32_f64_e32 v11, v[20:21]
	v_trunc_f64_e32 v[16:17], v[14:15]
	s_delay_alu instid0(VALU_DEP_3) | instskip(NEXT) | instid1(VALU_DEP_1)
	v_fmac_f64_e32 v[22:23], 0xbc7abc9e3b39803f, v[20:21]
	v_fmac_f64_e32 v[0:1], 0x3e5ade156a5dcb37, v[22:23]
	s_delay_alu instid0(VALU_DEP_1) | instskip(SKIP_1) | instid1(VALU_DEP_1)
	v_fmac_f64_e32 v[24:25], v[22:23], v[0:1]
	v_mov_b64_e32 v[0:1], 0x3efa01997c89e6b0
	v_fmac_f64_e32 v[0:1], v[22:23], v[24:25]
	v_mov_b64_e32 v[24:25], 0x3f2a01a014761f6e
	s_delay_alu instid0(VALU_DEP_1) | instskip(SKIP_1) | instid1(VALU_DEP_1)
	v_fmac_f64_e32 v[24:25], v[22:23], v[0:1]
	v_mov_b64_e32 v[0:1], 0x3f56c16c1852b7b0
	v_fmac_f64_e32 v[0:1], v[22:23], v[24:25]
	v_mov_b64_e32 v[24:25], 0x3f81111111122322
	s_delay_alu instid0(VALU_DEP_1) | instskip(SKIP_1) | instid1(VALU_DEP_1)
	v_fmac_f64_e32 v[24:25], v[22:23], v[0:1]
	v_mov_b64_e32 v[0:1], 0x3fa55555555502a1
	v_fmac_f64_e32 v[0:1], v[22:23], v[24:25]
	v_mov_b64_e32 v[24:25], 0x3fc5555555555511
	s_delay_alu instid0(VALU_DEP_1) | instskip(SKIP_1) | instid1(VALU_DEP_1)
	v_fmac_f64_e32 v[24:25], v[22:23], v[0:1]
	v_mov_b64_e32 v[0:1], 0x3fe000000000000b
	v_fmac_f64_e32 v[0:1], v[22:23], v[24:25]
	s_delay_alu instid0(VALU_DEP_1) | instskip(NEXT) | instid1(VALU_DEP_1)
	v_fma_f64 v[0:1], v[22:23], v[0:1], 1.0
	v_fma_f64 v[0:1], v[22:23], v[0:1], 1.0
	s_delay_alu instid0(VALU_DEP_1) | instskip(NEXT) | instid1(VALU_DEP_1)
	v_ldexp_f64 v[0:1], v[0:1], v11
	v_cndmask_b32_e64 v1, 0x7ff00000, v1, s0
	s_delay_alu instid0(VALU_DEP_2) | instskip(SKIP_1) | instid1(VALU_DEP_3)
	v_cndmask_b32_e32 v0, 0, v0, vcc_lo
	v_cmp_neq_f64_e32 vcc_lo, v[16:17], v[14:15]
	v_cndmask_b32_e64 v1, 0, v1, s1
	v_cmp_eq_f64_e64 s1, v[18:19], v[8:9]
	s_delay_alu instid0(VALU_DEP_2)
	v_fma_f64 v[6:7], v[0:1], v[6:7], v[0:1]
	v_cmp_class_f64_e64 s0, v[0:1], 0x204
	s_and_b32 vcc_lo, s1, vcc_lo
	v_cndmask_b32_e32 v8, 0, v5, vcc_lo
	v_cndmask_b32_e64 v1, v7, v1, s0
	v_cndmask_b32_e32 v7, 0x3ff00000, v5, vcc_lo
	v_cndmask_b32_e64 v0, v6, v0, s0
	v_cmp_gt_f64_e64 s0, 0, v[4:5]
	s_delay_alu instid0(VALU_DEP_3) | instskip(NEXT) | instid1(VALU_DEP_3)
	v_bfi_b32 v1, 0x7fffffff, v1, v7
	v_cndmask_b32_e64 v6, 0, v0, s1
	s_delay_alu instid0(VALU_DEP_2) | instskip(SKIP_1) | instid1(VALU_DEP_2)
	v_cndmask_b32_e64 v7, 0x7ff80000, v1, s1
	v_cmp_eq_f64_e64 s1, 0, v[4:5]
	v_dual_cndmask_b32 v1, v1, v7, s0 :: v_dual_cndmask_b32 v0, v0, v6, s0
	s_or_b32 vcc_lo, s1, s26
	s_and_b32 s0, s1, exec_lo
	s_cselect_b32 s0, 0, 0x7ff00000
	s_delay_alu instid0(VALU_DEP_1) | instskip(SKIP_2) | instid1(VALU_DEP_1)
	v_cndmask_b32_e64 v0, v0, 0, vcc_lo
	v_bfi_b32 v6, 0x7fffffff, s0, v8
	s_mul_f32 s0, s25, 0x37800000
	v_cndmask_b32_e32 v1, v1, v6, vcc_lo
	v_cmp_o_f64_e32 vcc_lo, v[4:5], v[4:5]
	s_delay_alu instid0(VALU_DEP_2) | instskip(NEXT) | instid1(VALU_DEP_1)
	v_add_f64_e64 v[0:1], -v[0:1], 1.0
	v_cndmask_b32_e32 v1, 0x7ff80000, v1, vcc_lo
	s_delay_alu instid0(VALU_DEP_2) | instskip(SKIP_1) | instid1(VALU_DEP_2)
	v_cndmask_b32_e32 v0, 0, v0, vcc_lo
	v_cmp_gt_f32_e32 vcc_lo, 0xf800000, v10
	v_cvt_f32_f64_e32 v0, v[0:1]
	v_mov_b32_e32 v1, s0
	v_cmp_class_f32_e64 s0, s3, 0x260
	s_delay_alu instid0(VALU_DEP_2) | instskip(NEXT) | instid1(VALU_DEP_1)
	v_cndmask_b32_e32 v1, s25, v1, vcc_lo
	v_cndmask_b32_e64 v1, v1, s3, s0
	s_delay_alu instid0(VALU_DEP_1) | instskip(NEXT) | instid1(VALU_DEP_1)
	v_mul_f32_e32 v1, s20, v1
	v_div_scale_f32 v4, null, v0, v0, v1
	s_delay_alu instid0(VALU_DEP_1)
	v_rcp_f32_e32 v5, v4
	v_nop
	v_xor_b32_e32 v4, 0x80000000, v4
	s_delay_alu instid0(TRANS32_DEP_1) | instid1(VALU_DEP_1)
	v_fma_f32 v6, v4, v5, 1.0
	s_delay_alu instid0(VALU_DEP_1) | instskip(SKIP_1) | instid1(VALU_DEP_1)
	v_fmac_f32_e32 v5, v6, v5
	v_div_scale_f32 v6, vcc_lo, v1, v0, v1
	v_mul_f32_e32 v7, v6, v5
	s_delay_alu instid0(VALU_DEP_1) | instskip(NEXT) | instid1(VALU_DEP_1)
	v_fma_f32 v8, v4, v7, v6
	v_fmac_f32_e32 v7, v8, v5
	s_delay_alu instid0(VALU_DEP_1) | instskip(NEXT) | instid1(VALU_DEP_1)
	v_fmac_f32_e32 v6, v4, v7
	v_div_fmas_f32 v4, v6, v5, v7
	s_delay_alu instid0(VALU_DEP_1)
	v_div_fixup_f32 v10, v4, v0, v1
.LBB6_20:
	s_sub_f32 s30, 1.0, s22
	s_mov_b32 s31, s22
	v_lshlrev_b64_e32 v[4:5], 2, v[2:3]
	v_lshl_add_u64 v[0:1], v[2:3], 1, s[8:9]
	v_mov_b64_e32 v[6:7], s[30:31]
	s_mul_i32 s26, s36, s33
	s_sub_f32 s1, 1.0, s21
	s_cmp_lg_u64 s[8:9], 0
	s_mov_b32 s20, s27
	s_cselect_b32 s3, -1, 0
	s_lshl_b64 s[8:9], s[26:27], 1
	s_lshl_b64 s[30:31], s[26:27], 2
	s_branch .LBB6_22
.LBB6_21:                               ;   in Loop: Header=BB6_22 Depth=1
	v_add_nc_u64_e32 v[2:3], s[26:27], v[2:3]
	s_wait_xcnt 0x0
	v_add_nc_u64_e32 v[0:1], s[8:9], v[0:1]
	v_add_nc_u64_e32 v[4:5], s[30:31], v[4:5]
	s_delay_alu instid0(VALU_DEP_3) | instskip(SKIP_1) | instid1(SALU_CYCLE_1)
	v_cmp_le_u64_e32 vcc_lo, s[28:29], v[2:3]
	s_or_b32 s20, vcc_lo, s20
	s_and_not1_b32 exec_lo, exec_lo, s20
	s_cbranch_execz .LBB6_25
.LBB6_22:                               ; =>This Inner Loop Header: Depth=1
	s_delay_alu instid0(VALU_DEP_2)
	v_add_nc_u64_e32 v[8:9], s[10:11], v[4:5]
	v_add_nc_u64_e32 v[14:15], s[12:13], v[4:5]
	global_load_b32 v11, v[8:9], off
	s_wait_xcnt 0x0
	v_add_nc_u64_e32 v[8:9], s[16:17], v[4:5]
	global_load_b32 v13, v[14:15], off
	s_wait_xcnt 0x0
	v_add_nc_u64_e32 v[14:15], s[4:5], v[4:5]
	global_load_b32 v9, v[8:9], off
	global_load_b32 v16, v[14:15], off
	s_wait_loadcnt 0x3
	s_wait_xcnt 0x1
	v_div_scale_f32 v8, null, v12, v12, v11
	v_div_scale_f32 v17, vcc_lo, v11, v12, v11
	s_wait_xcnt 0x0
	s_delay_alu instid0(VALU_DEP_2) | instskip(SKIP_1) | instid1(TRANS32_DEP_1)
	v_rcp_f32_e32 v14, v8
	v_nop
	v_fma_f32 v15, -v8, v14, 1.0
	s_delay_alu instid0(VALU_DEP_1) | instskip(NEXT) | instid1(VALU_DEP_1)
	v_fmac_f32_e32 v14, v15, v14
	v_mul_f32_e32 v15, v17, v14
	s_delay_alu instid0(VALU_DEP_1) | instskip(NEXT) | instid1(VALU_DEP_1)
	v_fma_f32 v18, -v8, v15, v17
	v_fmac_f32_e32 v15, v18, v14
	s_delay_alu instid0(VALU_DEP_1) | instskip(NEXT) | instid1(VALU_DEP_1)
	v_fma_f32 v8, -v8, v15, v17
	v_div_fmas_f32 v8, v8, v14, v15
	s_delay_alu instid0(VALU_DEP_1) | instskip(NEXT) | instid1(VALU_DEP_1)
	v_div_fixup_f32 v8, v8, v12, v11
	v_cndmask_b32_e64 v11, v8, v11, s2
	s_delay_alu instid0(VALU_DEP_1) | instskip(SKIP_1) | instid1(VALU_DEP_1)
	v_mul_f32_e32 v8, v11, v11
	s_wait_loadcnt 0x1
	v_pk_mul_f32 v[8:9], v[6:7], v[8:9]
	s_delay_alu instid0(VALU_DEP_1) | instskip(NEXT) | instid1(VALU_DEP_1)
	v_add_f32_e32 v20, v8, v9
	v_mul_f32_e32 v8, 0x4f800000, v20
	v_cmp_gt_f32_e32 vcc_lo, 0xf800000, v20
	s_delay_alu instid0(VALU_DEP_2) | instskip(NEXT) | instid1(VALU_DEP_1)
	v_cndmask_b32_e32 v15, v20, v8, vcc_lo
	v_sqrt_f32_e32 v8, v15
	v_nop
	s_delay_alu instid0(TRANS32_DEP_1) | instskip(NEXT) | instid1(VALU_DEP_1)
	v_dual_add_nc_u32 v9, -1, v8 :: v_dual_add_nc_u32 v14, 1, v8
	v_dual_fma_f32 v17, -v9, v8, v15 :: v_dual_fma_f32 v18, -v14, v8, v15
	s_delay_alu instid0(VALU_DEP_1) | instskip(NEXT) | instid1(VALU_DEP_1)
	v_cmp_ge_f32_e64 s0, 0, v17
	v_cndmask_b32_e64 v8, v8, v9, s0
	s_delay_alu instid0(VALU_DEP_3) | instskip(NEXT) | instid1(VALU_DEP_1)
	v_cmp_lt_f32_e64 s0, 0, v18
	v_dual_cndmask_b32 v8, v8, v14, s0 :: v_dual_mul_f32 v14, s21, v13
	s_delay_alu instid0(VALU_DEP_1) | instskip(NEXT) | instid1(VALU_DEP_1)
	v_mul_f32_e32 v9, 0x37800000, v8
	v_cndmask_b32_e32 v17, v8, v9, vcc_lo
	v_cmp_class_f32_e64 vcc_lo, v15, 0x260
	v_dual_mov_b32 v9, s23 :: v_dual_mul_f32 v8, s1, v11
	s_delay_alu instid0(VALU_DEP_3) | instskip(NEXT) | instid1(VALU_DEP_1)
	v_cndmask_b32_e32 v15, v17, v15, vcc_lo
	v_pk_add_f32 v[14:15], v[8:9], v[14:15]
	s_delay_alu instid0(VALU_DEP_1) | instskip(NEXT) | instid1(VALU_DEP_1)
	v_mul_f32_e32 v8, v10, v14
	v_div_scale_f32 v9, null, v15, v15, v8
	v_div_scale_f32 v17, vcc_lo, v8, v15, v8
	s_delay_alu instid0(VALU_DEP_2) | instskip(SKIP_1) | instid1(TRANS32_DEP_1)
	v_rcp_f32_e32 v11, v9
	v_nop
	v_fma_f32 v13, -v9, v11, 1.0
	s_delay_alu instid0(VALU_DEP_1) | instskip(NEXT) | instid1(VALU_DEP_1)
	v_fmac_f32_e32 v11, v13, v11
	v_mul_f32_e32 v13, v17, v11
	s_delay_alu instid0(VALU_DEP_1) | instskip(NEXT) | instid1(VALU_DEP_1)
	v_fma_f32 v18, -v9, v13, v17
	v_fmac_f32_e32 v13, v18, v11
	v_add_nc_u64_e32 v[18:19], s[18:19], v[4:5]
	s_delay_alu instid0(VALU_DEP_2) | instskip(NEXT) | instid1(VALU_DEP_1)
	v_fma_f32 v9, -v9, v13, v17
	v_div_fmas_f32 v9, v9, v11, v13
	s_and_not1_b32 vcc_lo, exec_lo, s3
	s_delay_alu instid0(VALU_DEP_1) | instskip(SKIP_1) | instid1(VALU_DEP_1)
	v_div_fixup_f32 v8, v9, v15, v8
	s_wait_loadcnt 0x0
	v_sub_f32_e32 v11, v16, v8
	v_add_nc_u64_e32 v[8:9], s[6:7], v[4:5]
	v_add_nc_u64_e32 v[16:17], s[14:15], v[4:5]
	s_delay_alu instid0(VALU_DEP_3)
	v_fma_f32 v11, -s24, v11, v11
	global_store_b32 v[8:9], v11, off
	global_store_b32 v[16:17], v14, off
	;; [unrolled: 1-line block ×3, first 2 shown]
	s_cbranch_vccnz .LBB6_21
; %bb.23:                               ;   in Loop: Header=BB6_22 Depth=1
	global_load_b32 v8, v[8:9], off
	s_wait_loadcnt 0x0
	v_cvt_f16_f32_e32 v8, v8
	global_store_b16 v[0:1], v8, off
	s_branch .LBB6_21
.LBB6_24:
	s_cbranch_execnz .LBB6_16
.LBB6_25:
	s_endpgm
	.section	.rodata,"a",@progbits
	.p2align	6, 0x0
	.amdhsa_kernel TransformersAmpAdamWContiguousWithStep
		.amdhsa_group_segment_fixed_size 0
		.amdhsa_private_segment_fixed_size 0
		.amdhsa_kernarg_size 384
		.amdhsa_user_sgpr_count 2
		.amdhsa_user_sgpr_dispatch_ptr 0
		.amdhsa_user_sgpr_queue_ptr 0
		.amdhsa_user_sgpr_kernarg_segment_ptr 1
		.amdhsa_user_sgpr_dispatch_id 0
		.amdhsa_user_sgpr_kernarg_preload_length 0
		.amdhsa_user_sgpr_kernarg_preload_offset 0
		.amdhsa_user_sgpr_private_segment_size 0
		.amdhsa_wavefront_size32 1
		.amdhsa_uses_dynamic_stack 0
		.amdhsa_enable_private_segment 0
		.amdhsa_system_sgpr_workgroup_id_x 1
		.amdhsa_system_sgpr_workgroup_id_y 0
		.amdhsa_system_sgpr_workgroup_id_z 0
		.amdhsa_system_sgpr_workgroup_info 0
		.amdhsa_system_vgpr_workitem_id 0
		.amdhsa_next_free_vgpr 32
		.amdhsa_next_free_sgpr 38
		.amdhsa_named_barrier_count 0
		.amdhsa_reserve_vcc 1
		.amdhsa_float_round_mode_32 0
		.amdhsa_float_round_mode_16_64 0
		.amdhsa_float_denorm_mode_32 3
		.amdhsa_float_denorm_mode_16_64 3
		.amdhsa_fp16_overflow 0
		.amdhsa_memory_ordered 1
		.amdhsa_forward_progress 1
		.amdhsa_inst_pref_size 39
		.amdhsa_round_robin_scheduling 0
		.amdhsa_exception_fp_ieee_invalid_op 0
		.amdhsa_exception_fp_denorm_src 0
		.amdhsa_exception_fp_ieee_div_zero 0
		.amdhsa_exception_fp_ieee_overflow 0
		.amdhsa_exception_fp_ieee_underflow 0
		.amdhsa_exception_fp_ieee_inexact 0
		.amdhsa_exception_int_div_zero 0
	.end_amdhsa_kernel
	.text
.Lfunc_end6:
	.size	TransformersAmpAdamWContiguousWithStep, .Lfunc_end6-TransformersAmpAdamWContiguousWithStep
                                        ; -- End function
	.set TransformersAmpAdamWContiguousWithStep.num_vgpr, 32
	.set TransformersAmpAdamWContiguousWithStep.num_agpr, 0
	.set TransformersAmpAdamWContiguousWithStep.numbered_sgpr, 38
	.set TransformersAmpAdamWContiguousWithStep.num_named_barrier, 0
	.set TransformersAmpAdamWContiguousWithStep.private_seg_size, 0
	.set TransformersAmpAdamWContiguousWithStep.uses_vcc, 1
	.set TransformersAmpAdamWContiguousWithStep.uses_flat_scratch, 0
	.set TransformersAmpAdamWContiguousWithStep.has_dyn_sized_stack, 0
	.set TransformersAmpAdamWContiguousWithStep.has_recursion, 0
	.set TransformersAmpAdamWContiguousWithStep.has_indirect_call, 0
	.section	.AMDGPU.csdata,"",@progbits
; Kernel info:
; codeLenInByte = 4924
; TotalNumSgprs: 40
; NumVgprs: 32
; ScratchSize: 0
; MemoryBound: 0
; FloatMode: 240
; IeeeMode: 1
; LDSByteSize: 0 bytes/workgroup (compile time only)
; SGPRBlocks: 0
; VGPRBlocks: 1
; NumSGPRsForWavesPerEU: 40
; NumVGPRsForWavesPerEU: 32
; NamedBarCnt: 0
; Occupancy: 16
; WaveLimiterHint : 0
; COMPUTE_PGM_RSRC2:SCRATCH_EN: 0
; COMPUTE_PGM_RSRC2:USER_SGPR: 2
; COMPUTE_PGM_RSRC2:TRAP_HANDLER: 0
; COMPUTE_PGM_RSRC2:TGID_X_EN: 1
; COMPUTE_PGM_RSRC2:TGID_Y_EN: 0
; COMPUTE_PGM_RSRC2:TGID_Z_EN: 0
; COMPUTE_PGM_RSRC2:TIDIG_COMP_CNT: 0
	.text
	.p2alignl 7, 3214868480
	.fill 96, 4, 3214868480
	.section	.AMDGPU.gpr_maximums,"",@progbits
	.set amdgpu.max_num_vgpr, 0
	.set amdgpu.max_num_agpr, 0
	.set amdgpu.max_num_sgpr, 0
	.text
	.type	__hip_cuid_25e3b13af45008c9,@object ; @__hip_cuid_25e3b13af45008c9
	.section	.bss,"aw",@nobits
	.globl	__hip_cuid_25e3b13af45008c9
__hip_cuid_25e3b13af45008c9:
	.byte	0                               ; 0x0
	.size	__hip_cuid_25e3b13af45008c9, 1

	.ident	"AMD clang version 22.0.0git (https://github.com/RadeonOpenCompute/llvm-project roc-7.2.4 26084 f58b06dce1f9c15707c5f808fd002e18c2accf7e)"
	.section	".note.GNU-stack","",@progbits
	.addrsig
	.addrsig_sym __hip_cuid_25e3b13af45008c9
	.amdgpu_metadata
---
amdhsa.kernels:
  - .args:
      - .address_space:  global
        .offset:         0
        .size:           8
        .value_kind:     global_buffer
      - .address_space:  global
        .offset:         8
        .size:           8
        .value_kind:     global_buffer
      - .address_space:  global
        .offset:         16
        .size:           8
        .value_kind:     global_buffer
      - .address_space:  global
        .offset:         24
        .size:           8
        .value_kind:     global_buffer
      - .address_space:  global
        .offset:         32
        .size:           8
        .value_kind:     global_buffer
      - .address_space:  global
        .offset:         40
        .size:           8
        .value_kind:     global_buffer
      - .address_space:  global
        .offset:         48
        .size:           8
        .value_kind:     global_buffer
      - .address_space:  global
        .offset:         56
        .size:           8
        .value_kind:     global_buffer
      - .address_space:  global
        .offset:         64
        .size:           8
        .value_kind:     global_buffer
      - .offset:         72
        .size:           4
        .value_kind:     by_value
      - .offset:         76
        .size:           4
        .value_kind:     by_value
      - .offset:         80
        .size:           4
        .value_kind:     by_value
      - .offset:         84
        .size:           4
        .value_kind:     by_value
      - .offset:         88
        .size:           4
        .value_kind:     by_value
      - .offset:         92
        .size:           4
        .value_kind:     by_value
      - .offset:         96
        .size:           1
        .value_kind:     by_value
      - .offset:         97
        .size:           1
        .value_kind:     by_value
      - .offset:         98
        .size:           1
        .value_kind:     by_value
      - .offset:         104
        .size:           8
        .value_kind:     by_value
      - .offset:         112
        .size:           4
        .value_kind:     hidden_block_count_x
      - .offset:         116
        .size:           4
        .value_kind:     hidden_block_count_y
      - .offset:         120
        .size:           4
        .value_kind:     hidden_block_count_z
      - .offset:         124
        .size:           2
        .value_kind:     hidden_group_size_x
      - .offset:         126
        .size:           2
        .value_kind:     hidden_group_size_y
      - .offset:         128
        .size:           2
        .value_kind:     hidden_group_size_z
      - .offset:         130
        .size:           2
        .value_kind:     hidden_remainder_x
      - .offset:         132
        .size:           2
        .value_kind:     hidden_remainder_y
      - .offset:         134
        .size:           2
        .value_kind:     hidden_remainder_z
      - .offset:         152
        .size:           8
        .value_kind:     hidden_global_offset_x
      - .offset:         160
        .size:           8
        .value_kind:     hidden_global_offset_y
      - .offset:         168
        .size:           8
        .value_kind:     hidden_global_offset_z
      - .offset:         176
        .size:           2
        .value_kind:     hidden_grid_dims
    .group_segment_fixed_size: 0
    .kernarg_segment_align: 8
    .kernarg_segment_size: 368
    .language:       OpenCL C
    .language_version:
      - 2
      - 0
    .max_flat_workgroup_size: 1024
    .name:           AdamContiguous
    .private_segment_fixed_size: 0
    .sgpr_count:     41
    .sgpr_spill_count: 0
    .symbol:         AdamContiguous.kd
    .uniform_work_group_size: 1
    .uses_dynamic_stack: false
    .vgpr_count:     31
    .vgpr_spill_count: 0
    .wavefront_size: 32
  - .args:
      - .address_space:  global
        .offset:         0
        .size:           8
        .value_kind:     global_buffer
      - .address_space:  global
        .offset:         8
        .size:           8
        .value_kind:     global_buffer
      - .address_space:  global
        .offset:         16
        .size:           8
        .value_kind:     global_buffer
      - .address_space:  global
        .offset:         24
        .size:           8
        .value_kind:     global_buffer
      - .address_space:  global
        .offset:         32
        .size:           8
        .value_kind:     global_buffer
      - .address_space:  global
        .offset:         40
        .size:           8
        .value_kind:     global_buffer
      - .address_space:  global
        .offset:         48
        .size:           8
        .value_kind:     global_buffer
      - .address_space:  global
        .offset:         56
        .size:           8
        .value_kind:     global_buffer
      - .address_space:  global
        .offset:         64
        .size:           8
        .value_kind:     global_buffer
      - .address_space:  global
        .offset:         72
        .size:           8
        .value_kind:     global_buffer
      - .address_space:  global
        .offset:         80
        .size:           8
        .value_kind:     global_buffer
      - .address_space:  global
        .offset:         88
        .size:           8
        .value_kind:     global_buffer
      - .address_space:  global
        .offset:         96
        .size:           8
        .value_kind:     global_buffer
      - .offset:         104
        .size:           4
        .value_kind:     by_value
      - .offset:         108
        .size:           4
        .value_kind:     by_value
      - .offset:         112
        .size:           4
        .value_kind:     by_value
      - .offset:         116
        .size:           4
        .value_kind:     by_value
      - .offset:         120
        .size:           4
        .value_kind:     by_value
      - .offset:         124
        .size:           1
        .value_kind:     by_value
      - .offset:         125
        .size:           1
        .value_kind:     by_value
      - .offset:         126
        .size:           1
        .value_kind:     by_value
      - .offset:         128
        .size:           8
        .value_kind:     by_value
      - .offset:         136
        .size:           4
        .value_kind:     hidden_block_count_x
      - .offset:         140
        .size:           4
        .value_kind:     hidden_block_count_y
      - .offset:         144
        .size:           4
        .value_kind:     hidden_block_count_z
      - .offset:         148
        .size:           2
        .value_kind:     hidden_group_size_x
      - .offset:         150
        .size:           2
        .value_kind:     hidden_group_size_y
      - .offset:         152
        .size:           2
        .value_kind:     hidden_group_size_z
      - .offset:         154
        .size:           2
        .value_kind:     hidden_remainder_x
      - .offset:         156
        .size:           2
        .value_kind:     hidden_remainder_y
      - .offset:         158
        .size:           2
        .value_kind:     hidden_remainder_z
      - .offset:         176
        .size:           8
        .value_kind:     hidden_global_offset_x
      - .offset:         184
        .size:           8
        .value_kind:     hidden_global_offset_y
      - .offset:         192
        .size:           8
        .value_kind:     hidden_global_offset_z
      - .offset:         200
        .size:           2
        .value_kind:     hidden_grid_dims
    .group_segment_fixed_size: 0
    .kernarg_segment_align: 8
    .kernarg_segment_size: 392
    .language:       OpenCL C
    .language_version:
      - 2
      - 0
    .max_flat_workgroup_size: 1024
    .name:           AmpAdamContiguousWithStep
    .private_segment_fixed_size: 0
    .sgpr_count:     64
    .sgpr_spill_count: 0
    .symbol:         AmpAdamContiguousWithStep.kd
    .uniform_work_group_size: 1
    .uses_dynamic_stack: false
    .vgpr_count:     32
    .vgpr_spill_count: 0
    .wavefront_size: 32
  - .args:
      - .address_space:  global
        .offset:         0
        .size:           8
        .value_kind:     global_buffer
      - .address_space:  global
        .offset:         8
        .size:           8
        .value_kind:     global_buffer
      - .address_space:  global
        .offset:         16
        .size:           8
        .value_kind:     global_buffer
      - .address_space:  global
        .offset:         24
        .size:           8
        .value_kind:     global_buffer
      - .address_space:  global
        .offset:         32
        .size:           8
        .value_kind:     global_buffer
      - .address_space:  global
        .offset:         40
        .size:           8
        .value_kind:     global_buffer
      - .address_space:  global
        .offset:         48
        .size:           8
        .value_kind:     global_buffer
      - .address_space:  global
        .offset:         56
        .size:           8
        .value_kind:     global_buffer
      - .address_space:  global
        .offset:         64
        .size:           8
        .value_kind:     global_buffer
      - .address_space:  global
        .offset:         72
        .size:           8
        .value_kind:     global_buffer
      - .address_space:  global
        .offset:         80
        .size:           8
        .value_kind:     global_buffer
      - .address_space:  global
        .offset:         88
        .size:           8
        .value_kind:     global_buffer
      - .offset:         96
        .size:           4
        .value_kind:     by_value
      - .offset:         100
        .size:           4
        .value_kind:     by_value
      - .offset:         104
        .size:           4
        .value_kind:     by_value
      - .offset:         108
        .size:           4
        .value_kind:     by_value
      - .offset:         112
        .size:           4
        .value_kind:     by_value
      - .offset:         116
        .size:           4
        .value_kind:     by_value
      - .offset:         120
        .size:           1
        .value_kind:     by_value
      - .offset:         121
        .size:           1
        .value_kind:     by_value
      - .offset:         122
        .size:           1
        .value_kind:     by_value
      - .offset:         128
        .size:           8
        .value_kind:     by_value
      - .offset:         136
        .size:           4
        .value_kind:     hidden_block_count_x
      - .offset:         140
        .size:           4
        .value_kind:     hidden_block_count_y
      - .offset:         144
        .size:           4
        .value_kind:     hidden_block_count_z
      - .offset:         148
        .size:           2
        .value_kind:     hidden_group_size_x
      - .offset:         150
        .size:           2
        .value_kind:     hidden_group_size_y
      - .offset:         152
        .size:           2
        .value_kind:     hidden_group_size_z
      - .offset:         154
        .size:           2
        .value_kind:     hidden_remainder_x
      - .offset:         156
        .size:           2
        .value_kind:     hidden_remainder_y
      - .offset:         158
        .size:           2
        .value_kind:     hidden_remainder_z
      - .offset:         176
        .size:           8
        .value_kind:     hidden_global_offset_x
      - .offset:         184
        .size:           8
        .value_kind:     hidden_global_offset_y
      - .offset:         192
        .size:           8
        .value_kind:     hidden_global_offset_z
      - .offset:         200
        .size:           2
        .value_kind:     hidden_grid_dims
    .group_segment_fixed_size: 0
    .kernarg_segment_align: 8
    .kernarg_segment_size: 392
    .language:       OpenCL C
    .language_version:
      - 2
      - 0
    .max_flat_workgroup_size: 1024
    .name:           AmpAdamContiguous
    .private_segment_fixed_size: 0
    .sgpr_count:     65
    .sgpr_spill_count: 0
    .symbol:         AmpAdamContiguous.kd
    .uniform_work_group_size: 1
    .uses_dynamic_stack: false
    .vgpr_count:     32
    .vgpr_spill_count: 0
    .wavefront_size: 32
  - .args:
      - .address_space:  global
        .offset:         0
        .size:           8
        .value_kind:     global_buffer
      - .address_space:  global
        .offset:         8
        .size:           8
        .value_kind:     global_buffer
      - .address_space:  global
        .offset:         16
        .size:           8
        .value_kind:     global_buffer
      - .offset:         24
        .size:           4
        .value_kind:     hidden_block_count_x
      - .offset:         28
        .size:           4
        .value_kind:     hidden_block_count_y
      - .offset:         32
        .size:           4
        .value_kind:     hidden_block_count_z
      - .offset:         36
        .size:           2
        .value_kind:     hidden_group_size_x
      - .offset:         38
        .size:           2
        .value_kind:     hidden_group_size_y
      - .offset:         40
        .size:           2
        .value_kind:     hidden_group_size_z
      - .offset:         42
        .size:           2
        .value_kind:     hidden_remainder_x
      - .offset:         44
        .size:           2
        .value_kind:     hidden_remainder_y
      - .offset:         46
        .size:           2
        .value_kind:     hidden_remainder_z
      - .offset:         64
        .size:           8
        .value_kind:     hidden_global_offset_x
      - .offset:         72
        .size:           8
        .value_kind:     hidden_global_offset_y
      - .offset:         80
        .size:           8
        .value_kind:     hidden_global_offset_z
      - .offset:         88
        .size:           2
        .value_kind:     hidden_grid_dims
    .group_segment_fixed_size: 0
    .kernarg_segment_align: 8
    .kernarg_segment_size: 280
    .language:       OpenCL C
    .language_version:
      - 2
      - 0
    .max_flat_workgroup_size: 1024
    .name:           AdamUpdateStep
    .private_segment_fixed_size: 0
    .sgpr_count:     11
    .sgpr_spill_count: 0
    .symbol:         AdamUpdateStep.kd
    .uniform_work_group_size: 1
    .uses_dynamic_stack: false
    .vgpr_count:     2
    .vgpr_spill_count: 0
    .wavefront_size: 32
  - .args:
      - .address_space:  global
        .offset:         0
        .size:           8
        .value_kind:     global_buffer
      - .address_space:  global
        .offset:         8
        .size:           8
        .value_kind:     global_buffer
      - .address_space:  global
        .offset:         16
        .size:           8
        .value_kind:     global_buffer
      - .address_space:  global
        .offset:         24
        .size:           8
        .value_kind:     global_buffer
      - .address_space:  global
        .offset:         32
        .size:           8
        .value_kind:     global_buffer
      - .address_space:  global
        .offset:         40
        .size:           8
        .value_kind:     global_buffer
      - .address_space:  global
        .offset:         48
        .size:           8
        .value_kind:     global_buffer
      - .offset:         56
        .size:           4
        .value_kind:     by_value
      - .offset:         60
        .size:           4
        .value_kind:     by_value
      - .offset:         64
        .size:           4
        .value_kind:     by_value
      - .offset:         68
        .size:           4
        .value_kind:     by_value
      - .offset:         72
        .size:           4
        .value_kind:     by_value
      - .offset:         80
        .size:           8
        .value_kind:     by_value
      - .offset:         88
        .size:           4
        .value_kind:     hidden_block_count_x
      - .offset:         92
        .size:           4
        .value_kind:     hidden_block_count_y
      - .offset:         96
        .size:           4
        .value_kind:     hidden_block_count_z
      - .offset:         100
        .size:           2
        .value_kind:     hidden_group_size_x
      - .offset:         102
        .size:           2
        .value_kind:     hidden_group_size_y
      - .offset:         104
        .size:           2
        .value_kind:     hidden_group_size_z
      - .offset:         106
        .size:           2
        .value_kind:     hidden_remainder_x
      - .offset:         108
        .size:           2
        .value_kind:     hidden_remainder_y
      - .offset:         110
        .size:           2
        .value_kind:     hidden_remainder_z
      - .offset:         128
        .size:           8
        .value_kind:     hidden_global_offset_x
      - .offset:         136
        .size:           8
        .value_kind:     hidden_global_offset_y
      - .offset:         144
        .size:           8
        .value_kind:     hidden_global_offset_z
      - .offset:         152
        .size:           2
        .value_kind:     hidden_grid_dims
    .group_segment_fixed_size: 0
    .kernarg_segment_align: 8
    .kernarg_segment_size: 344
    .language:       OpenCL C
    .language_version:
      - 2
      - 0
    .max_flat_workgroup_size: 1024
    .name:           TransformersAdamWContiguous
    .private_segment_fixed_size: 0
    .sgpr_count:     32
    .sgpr_spill_count: 0
    .symbol:         TransformersAdamWContiguous.kd
    .uniform_work_group_size: 1
    .uses_dynamic_stack: false
    .vgpr_count:     16
    .vgpr_spill_count: 0
    .wavefront_size: 32
  - .args:
      - .address_space:  global
        .offset:         0
        .size:           8
        .value_kind:     global_buffer
      - .address_space:  global
        .offset:         8
        .size:           8
        .value_kind:     global_buffer
      - .address_space:  global
        .offset:         16
        .size:           8
        .value_kind:     global_buffer
      - .address_space:  global
        .offset:         24
        .size:           8
        .value_kind:     global_buffer
      - .address_space:  global
        .offset:         32
        .size:           8
        .value_kind:     global_buffer
      - .address_space:  global
        .offset:         40
        .size:           8
        .value_kind:     global_buffer
      - .address_space:  global
        .offset:         48
        .size:           8
        .value_kind:     global_buffer
      - .address_space:  global
        .offset:         56
        .size:           8
        .value_kind:     global_buffer
      - .address_space:  global
        .offset:         64
        .size:           8
        .value_kind:     global_buffer
      - .address_space:  global
        .offset:         72
        .size:           8
        .value_kind:     global_buffer
      - .offset:         80
        .size:           4
        .value_kind:     by_value
      - .offset:         84
        .size:           4
        .value_kind:     by_value
      - .offset:         88
        .size:           4
        .value_kind:     by_value
      - .offset:         92
        .size:           4
        .value_kind:     by_value
      - .offset:         96
        .size:           4
        .value_kind:     by_value
      - .offset:         104
        .size:           8
        .value_kind:     by_value
      - .offset:         112
        .size:           4
        .value_kind:     hidden_block_count_x
      - .offset:         116
        .size:           4
        .value_kind:     hidden_block_count_y
      - .offset:         120
        .size:           4
        .value_kind:     hidden_block_count_z
      - .offset:         124
        .size:           2
        .value_kind:     hidden_group_size_x
      - .offset:         126
        .size:           2
        .value_kind:     hidden_group_size_y
      - .offset:         128
        .size:           2
        .value_kind:     hidden_group_size_z
      - .offset:         130
        .size:           2
        .value_kind:     hidden_remainder_x
      - .offset:         132
        .size:           2
        .value_kind:     hidden_remainder_y
      - .offset:         134
        .size:           2
        .value_kind:     hidden_remainder_z
      - .offset:         152
        .size:           8
        .value_kind:     hidden_global_offset_x
      - .offset:         160
        .size:           8
        .value_kind:     hidden_global_offset_y
      - .offset:         168
        .size:           8
        .value_kind:     hidden_global_offset_z
      - .offset:         176
        .size:           2
        .value_kind:     hidden_grid_dims
    .group_segment_fixed_size: 0
    .kernarg_segment_align: 8
    .kernarg_segment_size: 368
    .language:       OpenCL C
    .language_version:
      - 2
      - 0
    .max_flat_workgroup_size: 1024
    .name:           TransformersAmpAdamWContiguous
    .private_segment_fixed_size: 0
    .sgpr_count:     39
    .sgpr_spill_count: 0
    .symbol:         TransformersAmpAdamWContiguous.kd
    .uniform_work_group_size: 1
    .uses_dynamic_stack: false
    .vgpr_count:     19
    .vgpr_spill_count: 0
    .wavefront_size: 32
  - .args:
      - .address_space:  global
        .offset:         0
        .size:           8
        .value_kind:     global_buffer
      - .address_space:  global
        .offset:         8
        .size:           8
        .value_kind:     global_buffer
      - .address_space:  global
        .offset:         16
        .size:           8
        .value_kind:     global_buffer
      - .address_space:  global
        .offset:         24
        .size:           8
        .value_kind:     global_buffer
      - .address_space:  global
        .offset:         32
        .size:           8
        .value_kind:     global_buffer
      - .address_space:  global
        .offset:         40
        .size:           8
        .value_kind:     global_buffer
      - .address_space:  global
        .offset:         48
        .size:           8
        .value_kind:     global_buffer
      - .address_space:  global
        .offset:         56
        .size:           8
        .value_kind:     global_buffer
      - .address_space:  global
        .offset:         64
        .size:           8
        .value_kind:     global_buffer
      - .address_space:  global
        .offset:         72
        .size:           8
        .value_kind:     global_buffer
      - .address_space:  global
        .offset:         80
        .size:           8
        .value_kind:     global_buffer
      - .offset:         88
        .size:           4
        .value_kind:     by_value
      - .offset:         92
        .size:           4
        .value_kind:     by_value
      - .offset:         96
        .size:           4
        .value_kind:     by_value
      - .offset:         100
        .size:           4
        .value_kind:     by_value
      - .offset:         104
        .size:           4
        .value_kind:     by_value
      - .offset:         108
        .size:           4
        .value_kind:     by_value
      - .offset:         112
        .size:           1
        .value_kind:     by_value
      - .offset:         120
        .size:           8
        .value_kind:     by_value
      - .offset:         128
        .size:           4
        .value_kind:     hidden_block_count_x
      - .offset:         132
        .size:           4
        .value_kind:     hidden_block_count_y
      - .offset:         136
        .size:           4
        .value_kind:     hidden_block_count_z
      - .offset:         140
        .size:           2
        .value_kind:     hidden_group_size_x
      - .offset:         142
        .size:           2
        .value_kind:     hidden_group_size_y
      - .offset:         144
        .size:           2
        .value_kind:     hidden_group_size_z
      - .offset:         146
        .size:           2
        .value_kind:     hidden_remainder_x
      - .offset:         148
        .size:           2
        .value_kind:     hidden_remainder_y
      - .offset:         150
        .size:           2
        .value_kind:     hidden_remainder_z
      - .offset:         168
        .size:           8
        .value_kind:     hidden_global_offset_x
      - .offset:         176
        .size:           8
        .value_kind:     hidden_global_offset_y
      - .offset:         184
        .size:           8
        .value_kind:     hidden_global_offset_z
      - .offset:         192
        .size:           2
        .value_kind:     hidden_grid_dims
    .group_segment_fixed_size: 0
    .kernarg_segment_align: 8
    .kernarg_segment_size: 384
    .language:       OpenCL C
    .language_version:
      - 2
      - 0
    .max_flat_workgroup_size: 1024
    .name:           TransformersAmpAdamWContiguousWithStep
    .private_segment_fixed_size: 0
    .sgpr_count:     40
    .sgpr_spill_count: 0
    .symbol:         TransformersAmpAdamWContiguousWithStep.kd
    .uniform_work_group_size: 1
    .uses_dynamic_stack: false
    .vgpr_count:     32
    .vgpr_spill_count: 0
    .wavefront_size: 32
amdhsa.target:   amdgcn-amd-amdhsa--gfx1250
amdhsa.version:
  - 1
  - 2
...

	.end_amdgpu_metadata
